;; amdgpu-corpus repo=ROCm/rocFFT kind=compiled arch=gfx1201 opt=O3
	.text
	.amdgcn_target "amdgcn-amd-amdhsa--gfx1201"
	.amdhsa_code_object_version 6
	.protected	fft_rtc_fwd_len2430_factors_10_3_3_3_3_3_wgs_81_tpt_81_halfLds_dp_ip_CI_unitstride_sbrr_C2R_dirReg ; -- Begin function fft_rtc_fwd_len2430_factors_10_3_3_3_3_3_wgs_81_tpt_81_halfLds_dp_ip_CI_unitstride_sbrr_C2R_dirReg
	.globl	fft_rtc_fwd_len2430_factors_10_3_3_3_3_3_wgs_81_tpt_81_halfLds_dp_ip_CI_unitstride_sbrr_C2R_dirReg
	.p2align	8
	.type	fft_rtc_fwd_len2430_factors_10_3_3_3_3_3_wgs_81_tpt_81_halfLds_dp_ip_CI_unitstride_sbrr_C2R_dirReg,@function
fft_rtc_fwd_len2430_factors_10_3_3_3_3_3_wgs_81_tpt_81_halfLds_dp_ip_CI_unitstride_sbrr_C2R_dirReg: ; @fft_rtc_fwd_len2430_factors_10_3_3_3_3_3_wgs_81_tpt_81_halfLds_dp_ip_CI_unitstride_sbrr_C2R_dirReg
; %bb.0:
	s_clause 0x2
	s_load_b128 s[4:7], s[0:1], 0x0
	s_load_b64 s[8:9], s[0:1], 0x50
	s_load_b64 s[10:11], s[0:1], 0x18
	v_mul_u32_u24_e32 v1, 0x32a, v0
	v_mov_b32_e32 v3, 0
	s_delay_alu instid0(VALU_DEP_2) | instskip(NEXT) | instid1(VALU_DEP_1)
	v_lshrrev_b32_e32 v1, 16, v1
	v_add_nc_u32_e32 v5, ttmp9, v1
	v_mov_b32_e32 v1, 0
	v_mov_b32_e32 v2, 0
	;; [unrolled: 1-line block ×3, first 2 shown]
	s_wait_kmcnt 0x0
	v_cmp_lt_u64_e64 s2, s[6:7], 2
	s_delay_alu instid0(VALU_DEP_1)
	s_and_b32 vcc_lo, exec_lo, s2
	s_cbranch_vccnz .LBB0_8
; %bb.1:
	s_load_b64 s[2:3], s[0:1], 0x10
	v_mov_b32_e32 v1, 0
	v_mov_b32_e32 v2, 0
	s_add_nc_u64 s[12:13], s[10:11], 8
	s_mov_b64 s[14:15], 1
	s_wait_kmcnt 0x0
	s_add_nc_u64 s[16:17], s[2:3], 8
	s_mov_b32 s3, 0
.LBB0_2:                                ; =>This Inner Loop Header: Depth=1
	s_load_b64 s[18:19], s[16:17], 0x0
                                        ; implicit-def: $vgpr7_vgpr8
	s_mov_b32 s2, exec_lo
	s_wait_kmcnt 0x0
	v_or_b32_e32 v4, s19, v6
	s_delay_alu instid0(VALU_DEP_1)
	v_cmpx_ne_u64_e32 0, v[3:4]
	s_wait_alu 0xfffe
	s_xor_b32 s20, exec_lo, s2
	s_cbranch_execz .LBB0_4
; %bb.3:                                ;   in Loop: Header=BB0_2 Depth=1
	s_cvt_f32_u32 s2, s18
	s_cvt_f32_u32 s21, s19
	s_sub_nc_u64 s[24:25], 0, s[18:19]
	s_wait_alu 0xfffe
	s_delay_alu instid0(SALU_CYCLE_1) | instskip(SKIP_1) | instid1(SALU_CYCLE_2)
	s_fmamk_f32 s2, s21, 0x4f800000, s2
	s_wait_alu 0xfffe
	v_s_rcp_f32 s2, s2
	s_delay_alu instid0(TRANS32_DEP_1) | instskip(SKIP_1) | instid1(SALU_CYCLE_2)
	s_mul_f32 s2, s2, 0x5f7ffffc
	s_wait_alu 0xfffe
	s_mul_f32 s21, s2, 0x2f800000
	s_wait_alu 0xfffe
	s_delay_alu instid0(SALU_CYCLE_2) | instskip(SKIP_1) | instid1(SALU_CYCLE_2)
	s_trunc_f32 s21, s21
	s_wait_alu 0xfffe
	s_fmamk_f32 s2, s21, 0xcf800000, s2
	s_cvt_u32_f32 s23, s21
	s_wait_alu 0xfffe
	s_delay_alu instid0(SALU_CYCLE_1) | instskip(SKIP_1) | instid1(SALU_CYCLE_2)
	s_cvt_u32_f32 s22, s2
	s_wait_alu 0xfffe
	s_mul_u64 s[26:27], s[24:25], s[22:23]
	s_wait_alu 0xfffe
	s_mul_hi_u32 s29, s22, s27
	s_mul_i32 s28, s22, s27
	s_mul_hi_u32 s2, s22, s26
	s_mul_i32 s30, s23, s26
	s_wait_alu 0xfffe
	s_add_nc_u64 s[28:29], s[2:3], s[28:29]
	s_mul_hi_u32 s21, s23, s26
	s_mul_hi_u32 s31, s23, s27
	s_add_co_u32 s2, s28, s30
	s_wait_alu 0xfffe
	s_add_co_ci_u32 s2, s29, s21
	s_mul_i32 s26, s23, s27
	s_add_co_ci_u32 s27, s31, 0
	s_wait_alu 0xfffe
	s_add_nc_u64 s[26:27], s[2:3], s[26:27]
	s_wait_alu 0xfffe
	v_add_co_u32 v4, s2, s22, s26
	s_delay_alu instid0(VALU_DEP_1) | instskip(SKIP_1) | instid1(VALU_DEP_1)
	s_cmp_lg_u32 s2, 0
	s_add_co_ci_u32 s23, s23, s27
	v_readfirstlane_b32 s22, v4
	s_wait_alu 0xfffe
	s_delay_alu instid0(VALU_DEP_1)
	s_mul_u64 s[24:25], s[24:25], s[22:23]
	s_wait_alu 0xfffe
	s_mul_hi_u32 s27, s22, s25
	s_mul_i32 s26, s22, s25
	s_mul_hi_u32 s2, s22, s24
	s_mul_i32 s28, s23, s24
	s_wait_alu 0xfffe
	s_add_nc_u64 s[26:27], s[2:3], s[26:27]
	s_mul_hi_u32 s21, s23, s24
	s_mul_hi_u32 s22, s23, s25
	s_wait_alu 0xfffe
	s_add_co_u32 s2, s26, s28
	s_add_co_ci_u32 s2, s27, s21
	s_mul_i32 s24, s23, s25
	s_add_co_ci_u32 s25, s22, 0
	s_wait_alu 0xfffe
	s_add_nc_u64 s[24:25], s[2:3], s[24:25]
	s_wait_alu 0xfffe
	v_add_co_u32 v4, s2, v4, s24
	s_delay_alu instid0(VALU_DEP_1) | instskip(SKIP_1) | instid1(VALU_DEP_1)
	s_cmp_lg_u32 s2, 0
	s_add_co_ci_u32 s2, s23, s25
	v_mul_hi_u32 v13, v5, v4
	s_wait_alu 0xfffe
	v_mad_co_u64_u32 v[7:8], null, v5, s2, 0
	v_mad_co_u64_u32 v[9:10], null, v6, v4, 0
	;; [unrolled: 1-line block ×3, first 2 shown]
	s_delay_alu instid0(VALU_DEP_3) | instskip(SKIP_1) | instid1(VALU_DEP_4)
	v_add_co_u32 v4, vcc_lo, v13, v7
	s_wait_alu 0xfffd
	v_add_co_ci_u32_e32 v7, vcc_lo, 0, v8, vcc_lo
	s_delay_alu instid0(VALU_DEP_2) | instskip(SKIP_1) | instid1(VALU_DEP_2)
	v_add_co_u32 v4, vcc_lo, v4, v9
	s_wait_alu 0xfffd
	v_add_co_ci_u32_e32 v4, vcc_lo, v7, v10, vcc_lo
	s_wait_alu 0xfffd
	v_add_co_ci_u32_e32 v7, vcc_lo, 0, v12, vcc_lo
	s_delay_alu instid0(VALU_DEP_2) | instskip(SKIP_1) | instid1(VALU_DEP_2)
	v_add_co_u32 v4, vcc_lo, v4, v11
	s_wait_alu 0xfffd
	v_add_co_ci_u32_e32 v9, vcc_lo, 0, v7, vcc_lo
	s_delay_alu instid0(VALU_DEP_2) | instskip(SKIP_1) | instid1(VALU_DEP_3)
	v_mul_lo_u32 v10, s19, v4
	v_mad_co_u64_u32 v[7:8], null, s18, v4, 0
	v_mul_lo_u32 v11, s18, v9
	s_delay_alu instid0(VALU_DEP_2) | instskip(NEXT) | instid1(VALU_DEP_2)
	v_sub_co_u32 v7, vcc_lo, v5, v7
	v_add3_u32 v8, v8, v11, v10
	s_delay_alu instid0(VALU_DEP_1) | instskip(SKIP_1) | instid1(VALU_DEP_1)
	v_sub_nc_u32_e32 v10, v6, v8
	s_wait_alu 0xfffd
	v_subrev_co_ci_u32_e64 v10, s2, s19, v10, vcc_lo
	v_add_co_u32 v11, s2, v4, 2
	s_wait_alu 0xf1ff
	v_add_co_ci_u32_e64 v12, s2, 0, v9, s2
	v_sub_co_u32 v13, s2, v7, s18
	v_sub_co_ci_u32_e32 v8, vcc_lo, v6, v8, vcc_lo
	s_wait_alu 0xf1ff
	v_subrev_co_ci_u32_e64 v10, s2, 0, v10, s2
	s_delay_alu instid0(VALU_DEP_3) | instskip(NEXT) | instid1(VALU_DEP_3)
	v_cmp_le_u32_e32 vcc_lo, s18, v13
	v_cmp_eq_u32_e64 s2, s19, v8
	s_wait_alu 0xfffd
	v_cndmask_b32_e64 v13, 0, -1, vcc_lo
	v_cmp_le_u32_e32 vcc_lo, s19, v10
	s_wait_alu 0xfffd
	v_cndmask_b32_e64 v14, 0, -1, vcc_lo
	v_cmp_le_u32_e32 vcc_lo, s18, v7
	;; [unrolled: 3-line block ×3, first 2 shown]
	s_wait_alu 0xfffd
	v_cndmask_b32_e64 v15, 0, -1, vcc_lo
	v_cmp_eq_u32_e32 vcc_lo, s19, v10
	s_wait_alu 0xf1ff
	s_delay_alu instid0(VALU_DEP_2)
	v_cndmask_b32_e64 v7, v15, v7, s2
	s_wait_alu 0xfffd
	v_cndmask_b32_e32 v10, v14, v13, vcc_lo
	v_add_co_u32 v13, vcc_lo, v4, 1
	s_wait_alu 0xfffd
	v_add_co_ci_u32_e32 v14, vcc_lo, 0, v9, vcc_lo
	s_delay_alu instid0(VALU_DEP_3) | instskip(SKIP_2) | instid1(VALU_DEP_3)
	v_cmp_ne_u32_e32 vcc_lo, 0, v10
	s_wait_alu 0xfffd
	v_cndmask_b32_e32 v10, v13, v11, vcc_lo
	v_cndmask_b32_e32 v8, v14, v12, vcc_lo
	v_cmp_ne_u32_e32 vcc_lo, 0, v7
	s_wait_alu 0xfffd
	s_delay_alu instid0(VALU_DEP_2)
	v_dual_cndmask_b32 v7, v4, v10 :: v_dual_cndmask_b32 v8, v9, v8
.LBB0_4:                                ;   in Loop: Header=BB0_2 Depth=1
	s_wait_alu 0xfffe
	s_and_not1_saveexec_b32 s2, s20
	s_cbranch_execz .LBB0_6
; %bb.5:                                ;   in Loop: Header=BB0_2 Depth=1
	v_cvt_f32_u32_e32 v4, s18
	s_sub_co_i32 s20, 0, s18
	s_delay_alu instid0(VALU_DEP_1) | instskip(NEXT) | instid1(TRANS32_DEP_1)
	v_rcp_iflag_f32_e32 v4, v4
	v_mul_f32_e32 v4, 0x4f7ffffe, v4
	s_delay_alu instid0(VALU_DEP_1) | instskip(SKIP_1) | instid1(VALU_DEP_1)
	v_cvt_u32_f32_e32 v4, v4
	s_wait_alu 0xfffe
	v_mul_lo_u32 v7, s20, v4
	s_delay_alu instid0(VALU_DEP_1) | instskip(NEXT) | instid1(VALU_DEP_1)
	v_mul_hi_u32 v7, v4, v7
	v_add_nc_u32_e32 v4, v4, v7
	s_delay_alu instid0(VALU_DEP_1) | instskip(NEXT) | instid1(VALU_DEP_1)
	v_mul_hi_u32 v4, v5, v4
	v_mul_lo_u32 v7, v4, s18
	v_add_nc_u32_e32 v8, 1, v4
	s_delay_alu instid0(VALU_DEP_2) | instskip(NEXT) | instid1(VALU_DEP_1)
	v_sub_nc_u32_e32 v7, v5, v7
	v_subrev_nc_u32_e32 v9, s18, v7
	v_cmp_le_u32_e32 vcc_lo, s18, v7
	s_wait_alu 0xfffd
	s_delay_alu instid0(VALU_DEP_2) | instskip(NEXT) | instid1(VALU_DEP_1)
	v_dual_cndmask_b32 v7, v7, v9 :: v_dual_cndmask_b32 v4, v4, v8
	v_cmp_le_u32_e32 vcc_lo, s18, v7
	s_delay_alu instid0(VALU_DEP_2) | instskip(SKIP_1) | instid1(VALU_DEP_1)
	v_add_nc_u32_e32 v8, 1, v4
	s_wait_alu 0xfffd
	v_dual_cndmask_b32 v7, v4, v8 :: v_dual_mov_b32 v8, v3
.LBB0_6:                                ;   in Loop: Header=BB0_2 Depth=1
	s_wait_alu 0xfffe
	s_or_b32 exec_lo, exec_lo, s2
	s_load_b64 s[20:21], s[12:13], 0x0
	s_delay_alu instid0(VALU_DEP_1)
	v_mul_lo_u32 v4, v8, s18
	v_mul_lo_u32 v11, v7, s19
	v_mad_co_u64_u32 v[9:10], null, v7, s18, 0
	s_add_nc_u64 s[14:15], s[14:15], 1
	s_add_nc_u64 s[12:13], s[12:13], 8
	s_wait_alu 0xfffe
	v_cmp_ge_u64_e64 s2, s[14:15], s[6:7]
	s_add_nc_u64 s[16:17], s[16:17], 8
	s_delay_alu instid0(VALU_DEP_2) | instskip(NEXT) | instid1(VALU_DEP_3)
	v_add3_u32 v4, v10, v11, v4
	v_sub_co_u32 v5, vcc_lo, v5, v9
	s_wait_alu 0xfffd
	s_delay_alu instid0(VALU_DEP_2) | instskip(SKIP_3) | instid1(VALU_DEP_2)
	v_sub_co_ci_u32_e32 v4, vcc_lo, v6, v4, vcc_lo
	s_and_b32 vcc_lo, exec_lo, s2
	s_wait_kmcnt 0x0
	v_mul_lo_u32 v6, s21, v5
	v_mul_lo_u32 v4, s20, v4
	v_mad_co_u64_u32 v[1:2], null, s20, v5, v[1:2]
	s_delay_alu instid0(VALU_DEP_1)
	v_add3_u32 v2, v6, v2, v4
	s_wait_alu 0xfffe
	s_cbranch_vccnz .LBB0_9
; %bb.7:                                ;   in Loop: Header=BB0_2 Depth=1
	v_dual_mov_b32 v5, v7 :: v_dual_mov_b32 v6, v8
	s_branch .LBB0_2
.LBB0_8:
	v_dual_mov_b32 v8, v6 :: v_dual_mov_b32 v7, v5
.LBB0_9:
	s_lshl_b64 s[2:3], s[6:7], 3
	v_mul_hi_u32 v5, 0x3291620, v0
	s_wait_alu 0xfffe
	s_add_nc_u64 s[2:3], s[10:11], s[2:3]
	s_load_b64 s[2:3], s[2:3], 0x0
	s_load_b64 s[0:1], s[0:1], 0x20
	s_wait_kmcnt 0x0
	v_mul_lo_u32 v3, s2, v8
	v_mul_lo_u32 v4, s3, v7
	v_mad_co_u64_u32 v[1:2], null, s2, v7, v[1:2]
	v_cmp_gt_u64_e32 vcc_lo, s[0:1], v[7:8]
	s_delay_alu instid0(VALU_DEP_2) | instskip(SKIP_1) | instid1(VALU_DEP_2)
	v_add3_u32 v2, v4, v2, v3
	v_mul_u32_u24_e32 v3, 0x51, v5
	v_lshlrev_b64_e32 v[1:2], 4, v[1:2]
	s_delay_alu instid0(VALU_DEP_2)
	v_sub_nc_u32_e32 v82, v0, v3
	scratch_store_b64 off, v[1:2], off offset:40 ; 8-byte Folded Spill
	s_and_saveexec_b32 s1, vcc_lo
	s_cbranch_execz .LBB0_13
; %bb.10:
	scratch_load_b64 v[0:1], off, off offset:40 ; 8-byte Folded Reload
	v_mov_b32_e32 v83, 0
	s_delay_alu instid0(VALU_DEP_1) | instskip(SKIP_4) | instid1(VALU_DEP_2)
	v_lshlrev_b64_e32 v[2:3], 4, v[82:83]
	s_wait_loadcnt 0x0
	v_add_co_u32 v0, s0, s8, v0
	s_wait_alu 0xf1ff
	v_add_co_ci_u32_e64 v1, s0, s9, v1, s0
	v_add_co_u32 v78, s0, v0, v2
	s_wait_alu 0xf1ff
	s_delay_alu instid0(VALU_DEP_2)
	v_add_co_ci_u32_e64 v79, s0, v1, v3, s0
	v_cmp_eq_u32_e64 s0, 0x50, v82
	s_clause 0x1d
	global_load_b128 v[2:5], v[78:79], off
	global_load_b128 v[6:9], v[78:79], off offset:1296
	global_load_b128 v[10:13], v[78:79], off offset:2592
	;; [unrolled: 1-line block ×29, first 2 shown]
	v_lshl_add_u32 v78, v82, 4, 0
	s_wait_loadcnt 0x1d
	ds_store_b128 v78, v[2:5]
	s_wait_loadcnt 0x1c
	ds_store_b128 v78, v[6:9] offset:1296
	s_wait_loadcnt 0x1b
	ds_store_b128 v78, v[10:13] offset:2592
	;; [unrolled: 2-line block ×29, first 2 shown]
	s_and_saveexec_b32 s2, s0
	s_cbranch_execz .LBB0_12
; %bb.11:
	global_load_b128 v[0:3], v[0:1], off offset:38880
	v_mov_b32_e32 v82, 0x50
	s_wait_loadcnt 0x0
	ds_store_b128 v83, v[0:3] offset:38880
.LBB0_12:
	s_wait_alu 0xfffe
	s_or_b32 exec_lo, exec_lo, s2
.LBB0_13:
	s_wait_alu 0xfffe
	s_or_b32 exec_lo, exec_lo, s1
	v_lshlrev_b32_e32 v0, 4, v82
	global_wb scope:SCOPE_SE
	s_wait_storecnt_dscnt 0x0
	s_barrier_signal -1
	s_barrier_wait -1
	global_inv scope:SCOPE_SE
	v_add_nc_u32_e32 v116, 0, v0
	v_sub_nc_u32_e32 v10, 0, v0
	s_mov_b32 s1, exec_lo
                                        ; implicit-def: $vgpr4_vgpr5
	ds_load_b64 v[6:7], v116
	ds_load_b64 v[8:9], v10 offset:38880
	s_wait_dscnt 0x0
	v_add_f64_e32 v[0:1], v[6:7], v[8:9]
	v_add_f64_e64 v[2:3], v[6:7], -v[8:9]
	v_cmpx_ne_u32_e32 0, v82
	s_wait_alu 0xfffe
	s_xor_b32 s1, exec_lo, s1
	s_cbranch_execz .LBB0_15
; %bb.14:
	v_mov_b32_e32 v83, 0
	v_add_f64_e32 v[13:14], v[6:7], v[8:9]
	v_add_f64_e64 v[15:16], v[6:7], -v[8:9]
	s_delay_alu instid0(VALU_DEP_3) | instskip(NEXT) | instid1(VALU_DEP_1)
	v_lshlrev_b64_e32 v[0:1], 4, v[82:83]
	v_add_co_u32 v0, s0, s4, v0
	s_wait_alu 0xf1ff
	s_delay_alu instid0(VALU_DEP_2)
	v_add_co_ci_u32_e64 v1, s0, s5, v1, s0
	global_load_b128 v[2:5], v[0:1], off offset:38720
	ds_load_b64 v[0:1], v10 offset:38888
	ds_load_b64 v[11:12], v116 offset:8
	s_wait_dscnt 0x0
	v_add_f64_e32 v[6:7], v[0:1], v[11:12]
	v_add_f64_e64 v[0:1], v[11:12], -v[0:1]
	s_wait_loadcnt 0x0
	v_fma_f64 v[8:9], v[15:16], v[4:5], v[13:14]
	v_fma_f64 v[11:12], -v[15:16], v[4:5], v[13:14]
	s_delay_alu instid0(VALU_DEP_3) | instskip(SKIP_1) | instid1(VALU_DEP_4)
	v_fma_f64 v[13:14], v[6:7], v[4:5], -v[0:1]
	v_fma_f64 v[4:5], v[6:7], v[4:5], v[0:1]
	v_fma_f64 v[0:1], -v[6:7], v[2:3], v[8:9]
	s_delay_alu instid0(VALU_DEP_4) | instskip(NEXT) | instid1(VALU_DEP_4)
	v_fma_f64 v[6:7], v[6:7], v[2:3], v[11:12]
	v_fma_f64 v[8:9], v[15:16], v[2:3], v[13:14]
	s_delay_alu instid0(VALU_DEP_4)
	v_fma_f64 v[2:3], v[15:16], v[2:3], v[4:5]
	v_dual_mov_b32 v4, v82 :: v_dual_mov_b32 v5, v83
	ds_store_b128 v10, v[6:9] offset:38880
.LBB0_15:
	s_wait_alu 0xfffe
	s_and_not1_saveexec_b32 s0, s1
	s_cbranch_execz .LBB0_17
; %bb.16:
	v_mov_b32_e32 v8, 0
	ds_load_b128 v[4:7], v8 offset:19440
	s_wait_dscnt 0x0
	v_add_f64_e32 v[11:12], v[4:5], v[4:5]
	v_mul_f64_e32 v[13:14], -2.0, v[6:7]
	v_mov_b32_e32 v4, 0
	v_mov_b32_e32 v5, 0
	ds_store_b128 v8, v[11:14] offset:19440
.LBB0_17:
	s_wait_alu 0xfffe
	s_or_b32 exec_lo, exec_lo, s0
	v_lshlrev_b64_e32 v[4:5], 4, v[4:5]
	s_add_nc_u64 s[0:1], s[4:5], 0x9740
	v_add_nc_u32_e32 v133, 0x195, v82
	v_add_nc_u32_e32 v43, 0x237, v82
	;; [unrolled: 1-line block ×4, first 2 shown]
	s_wait_alu 0xfffe
	v_add_co_u32 v4, s0, s0, v4
	s_wait_alu 0xf1ff
	v_add_co_ci_u32_e64 v5, s0, s1, v5, s0
	v_and_b32_e32 v119, 0xff, v82
	v_mul_u32_u24_e32 v124, 10, v82
	s_mov_b32 s2, 0x134454ff
	s_clause 0x1
	global_load_b128 v[6:9], v[4:5], off offset:1296
	global_load_b128 v[11:14], v[4:5], off offset:2592
	ds_store_b128 v116, v[0:3]
	ds_load_b128 v[0:3], v116 offset:1296
	ds_load_b128 v[15:18], v10 offset:37584
	global_load_b128 v[19:22], v[4:5], off offset:3888
	s_mov_b32 s3, 0x3fee6f0e
	s_mov_b32 s11, 0xbfee6f0e
	s_wait_alu 0xfffe
	s_mov_b32 s10, s2
	s_mov_b32 s0, 0x4755a5e
	;; [unrolled: 1-line block ×4, first 2 shown]
	s_wait_alu 0xfffe
	s_mov_b32 s6, s0
	s_mov_b32 s12, 0x372fe950
	;; [unrolled: 1-line block ×5, first 2 shown]
	s_wait_dscnt 0x0
	v_add_f64_e32 v[23:24], v[0:1], v[15:16]
	v_add_f64_e32 v[25:26], v[17:18], v[2:3]
	v_add_f64_e64 v[27:28], v[0:1], -v[15:16]
	v_add_f64_e64 v[0:1], v[2:3], -v[17:18]
	s_wait_loadcnt 0x2
	s_delay_alu instid0(VALU_DEP_2) | instskip(NEXT) | instid1(VALU_DEP_2)
	v_fma_f64 v[2:3], v[27:28], v[8:9], v[23:24]
	v_fma_f64 v[15:16], v[25:26], v[8:9], v[0:1]
	v_fma_f64 v[17:18], -v[27:28], v[8:9], v[23:24]
	v_fma_f64 v[8:9], v[25:26], v[8:9], -v[0:1]
	s_delay_alu instid0(VALU_DEP_4) | instskip(NEXT) | instid1(VALU_DEP_4)
	v_fma_f64 v[0:1], -v[25:26], v[6:7], v[2:3]
	v_fma_f64 v[2:3], v[27:28], v[6:7], v[15:16]
	s_delay_alu instid0(VALU_DEP_4) | instskip(NEXT) | instid1(VALU_DEP_4)
	v_fma_f64 v[15:16], v[25:26], v[6:7], v[17:18]
	v_fma_f64 v[17:18], v[27:28], v[6:7], v[8:9]
	ds_store_b128 v116, v[0:3] offset:1296
	ds_store_b128 v10, v[15:18] offset:37584
	ds_load_b128 v[0:3], v116 offset:2592
	ds_load_b128 v[6:9], v10 offset:36288
	global_load_b128 v[15:18], v[4:5], off offset:5184
	s_wait_dscnt 0x0
	v_add_f64_e32 v[23:24], v[0:1], v[6:7]
	v_add_f64_e32 v[25:26], v[8:9], v[2:3]
	v_add_f64_e64 v[27:28], v[0:1], -v[6:7]
	v_add_f64_e64 v[0:1], v[2:3], -v[8:9]
	s_wait_loadcnt 0x2
	s_delay_alu instid0(VALU_DEP_2) | instskip(NEXT) | instid1(VALU_DEP_2)
	v_fma_f64 v[2:3], v[27:28], v[13:14], v[23:24]
	v_fma_f64 v[6:7], v[25:26], v[13:14], v[0:1]
	v_fma_f64 v[8:9], -v[27:28], v[13:14], v[23:24]
	v_fma_f64 v[13:14], v[25:26], v[13:14], -v[0:1]
	s_delay_alu instid0(VALU_DEP_4) | instskip(NEXT) | instid1(VALU_DEP_4)
	v_fma_f64 v[0:1], -v[25:26], v[11:12], v[2:3]
	v_fma_f64 v[2:3], v[27:28], v[11:12], v[6:7]
	s_delay_alu instid0(VALU_DEP_4) | instskip(NEXT) | instid1(VALU_DEP_4)
	v_fma_f64 v[6:7], v[25:26], v[11:12], v[8:9]
	v_fma_f64 v[8:9], v[27:28], v[11:12], v[13:14]
	ds_store_b128 v116, v[0:3] offset:2592
	ds_store_b128 v10, v[6:9] offset:36288
	ds_load_b128 v[0:3], v116 offset:3888
	ds_load_b128 v[6:9], v10 offset:34992
	global_load_b128 v[11:14], v[4:5], off offset:6480
	;; [unrolled: 22-line block ×11, first 2 shown]
	s_wait_dscnt 0x0
	v_add_f64_e32 v[4:5], v[0:1], v[6:7]
	v_add_f64_e32 v[23:24], v[8:9], v[2:3]
	v_add_f64_e64 v[6:7], v[0:1], -v[6:7]
	v_add_f64_e64 v[0:1], v[2:3], -v[8:9]
	s_wait_loadcnt 0x2
	s_delay_alu instid0(VALU_DEP_2) | instskip(NEXT) | instid1(VALU_DEP_2)
	v_fma_f64 v[2:3], v[6:7], v[21:22], v[4:5]
	v_fma_f64 v[8:9], v[23:24], v[21:22], v[0:1]
	v_fma_f64 v[4:5], -v[6:7], v[21:22], v[4:5]
	v_fma_f64 v[21:22], v[23:24], v[21:22], -v[0:1]
	s_delay_alu instid0(VALU_DEP_4) | instskip(NEXT) | instid1(VALU_DEP_4)
	v_fma_f64 v[0:1], -v[23:24], v[19:20], v[2:3]
	v_fma_f64 v[2:3], v[6:7], v[19:20], v[8:9]
	s_delay_alu instid0(VALU_DEP_4) | instskip(NEXT) | instid1(VALU_DEP_4)
	v_fma_f64 v[4:5], v[23:24], v[19:20], v[4:5]
	v_fma_f64 v[6:7], v[6:7], v[19:20], v[21:22]
	ds_store_b128 v116, v[0:3] offset:15552
	ds_store_b128 v10, v[4:7] offset:23328
	ds_load_b128 v[0:3], v116 offset:16848
	ds_load_b128 v[4:7], v10 offset:22032
	s_wait_dscnt 0x0
	v_add_f64_e32 v[8:9], v[0:1], v[4:5]
	v_add_f64_e32 v[19:20], v[6:7], v[2:3]
	v_add_f64_e64 v[21:22], v[0:1], -v[4:5]
	v_add_f64_e64 v[0:1], v[2:3], -v[6:7]
	s_wait_loadcnt 0x1
	s_delay_alu instid0(VALU_DEP_2) | instskip(NEXT) | instid1(VALU_DEP_2)
	v_fma_f64 v[2:3], v[21:22], v[17:18], v[8:9]
	v_fma_f64 v[4:5], v[19:20], v[17:18], v[0:1]
	v_fma_f64 v[6:7], -v[21:22], v[17:18], v[8:9]
	v_fma_f64 v[8:9], v[19:20], v[17:18], -v[0:1]
	s_delay_alu instid0(VALU_DEP_4) | instskip(NEXT) | instid1(VALU_DEP_4)
	v_fma_f64 v[0:1], -v[19:20], v[15:16], v[2:3]
	v_fma_f64 v[2:3], v[21:22], v[15:16], v[4:5]
	s_delay_alu instid0(VALU_DEP_4) | instskip(NEXT) | instid1(VALU_DEP_4)
	v_fma_f64 v[4:5], v[19:20], v[15:16], v[6:7]
	v_fma_f64 v[6:7], v[21:22], v[15:16], v[8:9]
	ds_store_b128 v116, v[0:3] offset:16848
	ds_store_b128 v10, v[4:7] offset:22032
	ds_load_b128 v[0:3], v116 offset:18144
	ds_load_b128 v[4:7], v10 offset:20736
	s_wait_dscnt 0x0
	v_add_f64_e32 v[8:9], v[0:1], v[4:5]
	v_add_f64_e32 v[15:16], v[6:7], v[2:3]
	v_add_f64_e64 v[17:18], v[0:1], -v[4:5]
	v_add_f64_e64 v[0:1], v[2:3], -v[6:7]
	s_wait_loadcnt 0x0
	s_delay_alu instid0(VALU_DEP_2) | instskip(NEXT) | instid1(VALU_DEP_2)
	v_fma_f64 v[2:3], v[17:18], v[13:14], v[8:9]
	v_fma_f64 v[4:5], v[15:16], v[13:14], v[0:1]
	v_fma_f64 v[6:7], -v[17:18], v[13:14], v[8:9]
	v_fma_f64 v[8:9], v[15:16], v[13:14], -v[0:1]
	s_delay_alu instid0(VALU_DEP_4) | instskip(NEXT) | instid1(VALU_DEP_4)
	v_fma_f64 v[0:1], -v[15:16], v[11:12], v[2:3]
	v_fma_f64 v[2:3], v[17:18], v[11:12], v[4:5]
	s_delay_alu instid0(VALU_DEP_4) | instskip(NEXT) | instid1(VALU_DEP_4)
	v_fma_f64 v[4:5], v[15:16], v[11:12], v[6:7]
	v_fma_f64 v[6:7], v[17:18], v[11:12], v[8:9]
	v_add_nc_u32_e32 v8, 0x51, v82
	scratch_store_b32 off, v8, off offset:16 ; 4-byte Folded Spill
	v_add_nc_u32_e32 v8, 0xa2, v82
	scratch_store_b32 off, v8, off offset:104 ; 4-byte Folded Spill
	;; [unrolled: 2-line block ×3, first 2 shown]
	v_add_nc_u32_e32 v8, 0x144, v82
	s_clause 0x1
	scratch_store_b32 off, v119, off offset:48
	scratch_store_b32 off, v8, off offset:8
	v_add_nc_u32_e32 v8, 0x2d9, v82
	scratch_store_b32 off, v8, off offset:28 ; 4-byte Folded Spill
	ds_store_b128 v116, v[0:3] offset:18144
	ds_store_b128 v10, v[4:7] offset:20736
	global_wb scope:SCOPE_SE
	s_wait_storecnt_dscnt 0x0
	s_barrier_signal -1
	s_barrier_wait -1
	global_inv scope:SCOPE_SE
	global_wb scope:SCOPE_SE
	s_barrier_signal -1
	s_barrier_wait -1
	global_inv scope:SCOPE_SE
	ds_load_b128 v[61:64], v116
	ds_load_b128 v[76:79], v116 offset:1296
	ds_load_b128 v[46:49], v116 offset:7776
	;; [unrolled: 1-line block ×29, first 2 shown]
	s_wait_dscnt 0x1b
	v_add_f64_e32 v[73:74], v[61:62], v[46:47]
	v_add_f64_e32 v[154:155], v[63:64], v[48:49]
	s_wait_dscnt 0x11
	v_add_f64_e32 v[156:157], v[88:89], v[92:93]
	v_add_f64_e32 v[214:215], v[86:87], v[26:27]
	;; [unrolled: 1-line block ×5, first 2 shown]
	v_add_f64_e64 v[80:81], v[71:72], -v[98:99]
	v_add_f64_e64 v[162:163], v[46:47], -v[69:70]
	v_add_f64_e64 v[168:169], v[69:70], -v[46:47]
	v_add_f64_e32 v[172:173], v[71:72], v[98:99]
	v_add_f64_e64 v[40:41], v[69:70], -v[96:97]
	s_wait_dscnt 0x7
	v_add_f64_e32 v[222:223], v[129:130], v[138:139]
	v_add_f64_e64 v[174:175], v[48:49], -v[71:72]
	v_add_f64_e64 v[176:177], v[71:72], -v[48:49]
	;; [unrolled: 1-line block ×7, first 2 shown]
	v_add_f64_e32 v[196:197], v[92:93], v[20:21]
	v_add_f64_e64 v[58:59], v[92:93], -v[20:21]
	v_add_f64_e32 v[92:93], v[94:95], v[22:23]
	v_add_f64_e32 v[94:95], v[76:77], v[65:66]
	;; [unrolled: 1-line block ×3, first 2 shown]
	v_add_f64_e64 v[210:211], v[65:66], -v[84:85]
	v_add_f64_e64 v[212:213], v[84:85], -v[65:66]
	v_add_f64_e32 v[218:219], v[65:66], v[0:1]
	v_add_f64_e32 v[224:225], v[131:132], v[140:141]
	v_add_f64_e64 v[44:45], v[48:49], -v[14:15]
	v_add_f64_e32 v[180:181], v[48:49], v[14:15]
	v_add_f64_e32 v[184:185], v[108:109], v[125:126]
	v_add_f64_e64 v[48:49], v[108:109], -v[125:126]
	v_add_f64_e64 v[198:199], v[20:21], -v[125:126]
	;; [unrolled: 1-line block ×6, first 2 shown]
	v_add_f64_e32 v[254:255], v[73:74], v[69:70]
	v_add_f64_e32 v[72:73], v[154:155], v[71:72]
	v_add_f64_e64 v[70:71], v[65:66], -v[0:1]
	v_add_f64_e32 v[65:66], v[156:157], v[108:109]
	v_fma_f64 v[214:215], v[214:215], -0.5, v[78:79]
	v_fma_f64 v[220:221], v[220:221], -0.5, v[78:79]
	v_add_f64_e32 v[108:109], v[158:159], v[110:111]
	v_add_f64_e32 v[190:191], v[110:111], v[127:128]
	v_add_f64_e64 v[206:207], v[127:128], -v[22:23]
	v_add_f64_e64 v[178:179], v[14:15], -v[98:99]
	;; [unrolled: 1-line block ×3, first 2 shown]
	v_add_f64_e32 v[166:167], v[46:47], v[12:13]
	s_wait_dscnt 0x5
	v_add_f64_e32 v[78:79], v[222:223], v[146:147]
	scratch_store_b64 off, v[40:41], off offset:96 ; 8-byte Folded Spill
	v_add_f64_e64 v[164:165], v[12:13], -v[96:97]
	v_add_f64_e32 v[208:209], v[84:85], v[24:25]
	s_wait_dscnt 0x3
	v_add_f64_e32 v[226:227], v[146:147], v[36:37]
	v_add_f64_e32 v[228:229], v[148:149], v[38:39]
	s_wait_dscnt 0x1
	v_add_f64_e32 v[230:231], v[138:139], v[16:17]
	v_add_f64_e32 v[232:233], v[140:141], v[18:19]
	;; [unrolled: 1-line block ×6, first 2 shown]
	s_wait_dscnt 0x0
	v_add_f64_e32 v[248:249], v[142:143], v[8:9]
	v_fma_f64 v[158:159], v[160:161], -0.5, v[61:62]
	v_add_f64_e32 v[250:251], v[152:153], v[34:35]
	v_add_f64_e32 v[252:253], v[144:145], v[10:11]
	v_add_f64_e64 v[156:157], v[24:25], -v[0:1]
	v_add_f64_e64 v[216:217], v[67:68], -v[86:87]
	v_add_f64_e32 v[234:235], v[100:101], v[104:105]
	v_add_f64_e32 v[236:237], v[102:103], v[106:107]
	;; [unrolled: 1-line block ×4, first 2 shown]
	v_add_f64_e64 v[110:111], v[2:3], -v[26:27]
	v_add_f64_e64 v[74:75], v[148:149], -v[38:39]
	;; [unrolled: 1-line block ×3, first 2 shown]
	v_fma_f64 v[218:219], v[218:219], -0.5, v[76:77]
	v_add_f64_e64 v[94:95], v[138:139], -v[16:17]
	v_add_f64_e32 v[72:73], v[72:73], v[98:99]
	v_add_f64_e32 v[98:99], v[192:193], v[204:205]
	;; [unrolled: 1-line block ×3, first 2 shown]
	scratch_load_b32 v204, off, off offset:24 ; 4-byte Folded Reload
	v_add_f64_e64 v[120:121], v[142:143], -v[150:151]
	v_add_f64_e32 v[127:128], v[108:109], v[127:128]
	v_add_f64_e32 v[108:109], v[186:187], v[198:199]
	s_clause 0x1
	scratch_load_b32 v198, off, off offset:16
	scratch_load_b32 v199, off, off offset:104 th:TH_LOAD_LU
	v_add_f64_e64 v[154:155], v[86:87], -v[67:68]
	v_fma_f64 v[160:161], v[166:167], -0.5, v[61:62]
	scratch_store_b64 off, v[78:79], off offset:124 ; 8-byte Folded Spill
	v_add_f64_e32 v[78:79], v[224:225], v[148:149]
	v_add_f64_e32 v[224:225], v[254:255], v[96:97]
	scratch_load_b32 v254, off, off offset:28 ; 4-byte Folded Reload
	v_fma_f64 v[166:167], v[172:173], -0.5, v[63:64]
	v_fma_f64 v[172:173], v[180:181], -0.5, v[63:64]
	v_add_f64_e32 v[63:64], v[134:135], v[142:143]
	v_add_f64_e64 v[61:62], v[138:139], -v[146:147]
	v_fma_f64 v[208:209], v[208:209], -0.5, v[76:77]
	v_add_f64_e64 v[76:77], v[140:141], -v[148:149]
	v_add_f64_e64 v[148:149], v[148:149], -v[140:141]
	scratch_store_b64 off, v[40:41], off offset:108 ; 8-byte Folded Spill
	v_add_f64_e32 v[40:41], v[200:201], v[86:87]
	v_add_f64_e64 v[138:139], v[16:17], -v[36:37]
	v_fma_f64 v[226:227], v[226:227], -0.5, v[129:130]
	v_fma_f64 v[230:231], v[230:231], -0.5, v[129:130]
	;; [unrolled: 1-line block ×4, first 2 shown]
	v_add_f64_e64 v[129:130], v[18:19], -v[38:39]
	v_fma_f64 v[240:241], v[240:241], -0.5, v[102:103]
	v_fma_f64 v[244:245], v[244:245], -0.5, v[102:103]
	;; [unrolled: 1-line block ×4, first 2 shown]
	v_add_f64_e64 v[134:135], v[106:107], -v[114:115]
	v_add_f64_e64 v[131:132], v[114:115], -v[106:107]
	;; [unrolled: 1-line block ×6, first 2 shown]
	scratch_store_b64 off, v[65:66], off offset:148 ; 8-byte Folded Spill
	v_add_f64_e64 v[180:181], v[26:27], -v[2:3]
	v_add_f64_e32 v[66:67], v[174:175], v[178:179]
	v_add_f64_e64 v[174:175], v[6:7], -v[30:31]
	v_fma_f64 v[250:251], v[250:251], -0.5, v[136:137]
	v_fma_f64 v[252:253], v[252:253], -0.5, v[136:137]
	scratch_store_b64 off, v[72:73], off offset:140 ; 8-byte Folded Spill
	v_add_f64_e32 v[72:73], v[212:213], v[156:157]
	v_mov_b32_e32 v156, v60
	v_add_f64_e64 v[50:51], v[86:87], -v[26:27]
	scratch_store_b64 off, v[78:79], off offset:132 ; 8-byte Folded Spill
	v_add_f64_e32 v[78:79], v[168:169], v[170:171]
	v_add_f64_e32 v[168:169], v[188:189], v[202:203]
	scratch_load_b32 v202, off, off offset:8 ; 4-byte Folded Reload
	v_mov_b32_e32 v203, v133
	v_add_f64_e32 v[150:151], v[63:64], v[150:151]
	v_add_f64_e32 v[64:65], v[162:163], v[164:165]
	v_add_f64_e64 v[162:163], v[38:39], -v[18:19]
	v_mul_lo_u16 v63, 0xcd, v119
	s_clause 0x2
	scratch_store_b64 off, v[82:83], off
	scratch_store_b32 off, v203, off offset:12
	scratch_store_b64 off, v[40:41], off offset:116
	v_add_f64_e32 v[40:41], v[136:137], v[144:145]
	v_add_f64_e64 v[54:55], v[84:85], -v[24:25]
	v_fma_f64 v[190:191], v[190:191], -0.5, v[90:91]
	v_fma_f64 v[84:85], v[92:93], -0.5, v[90:91]
	v_add_f64_e64 v[92:93], v[140:141], -v[18:19]
	v_add_f64_e64 v[86:87], v[114:115], -v[30:31]
	v_fma_f64 v[238:239], v[238:239], -0.5, v[100:101]
	v_fma_f64 v[242:243], v[242:243], -0.5, v[100:101]
	v_add_f64_e64 v[140:141], v[104:105], -v[112:113]
	v_add_f64_e64 v[222:223], v[112:113], -v[104:105]
	;; [unrolled: 1-line block ×3, first 2 shown]
	v_add_f64_e32 v[234:235], v[234:235], v[112:113]
	v_add_f64_e32 v[236:237], v[236:237], v[114:115]
	v_add_f64_e64 v[100:101], v[104:105], -v[4:5]
	v_add_f64_e64 v[104:105], v[152:153], -v[34:35]
	;; [unrolled: 1-line block ×5, first 2 shown]
	v_lshl_add_u32 v143, v124, 4, 0
	v_add_f64_e32 v[96:97], v[76:77], v[129:130]
	v_and_b32_e32 v129, 0xffff, v203
	v_mov_b32_e32 v205, v43
	v_mov_b32_e32 v255, v42
	v_lshrrev_b16 v124, 11, v63
	scratch_store_b32 off, v156, off offset:32 ; 4-byte Folded Spill
	v_add_f64_e32 v[76:77], v[154:155], v[180:181]
	v_fma_f64 v[196:197], v[196:197], -0.5, v[88:89]
	v_add_f64_e64 v[164:165], v[4:5], -v[28:29]
	v_add_f64_e64 v[170:171], v[28:29], -v[4:5]
	v_mul_lo_u16 v155, v124, 10
	v_add_f64_e64 v[82:83], v[0:1], -v[24:25]
	v_fma_f64 v[184:185], v[184:185], -0.5, v[88:89]
	v_add_f64_e64 v[88:89], v[146:147], -v[36:37]
	v_add_f64_e64 v[178:179], v[8:9], -v[32:33]
	v_add_f64_e32 v[146:147], v[176:177], v[182:183]
	v_add_f64_e64 v[182:183], v[10:11], -v[34:35]
	v_add_f64_e64 v[192:193], v[34:35], -v[10:11]
	v_add_f64_e32 v[176:177], v[194:195], v[206:207]
	v_add_f64_e32 v[125:126], v[40:41], v[152:153]
	v_add_f64_e64 v[152:153], v[152:153], -v[144:145]
	v_add_f64_e32 v[144:145], v[216:217], v[110:111]
	v_add_f64_e32 v[110:111], v[61:62], v[138:139]
	v_and_b32_e32 v61, 0xffff, v60
	v_and_b32_e32 v60, 0xffff, v43
	;; [unrolled: 1-line block ×3, first 2 shown]
	v_add_f64_e32 v[62:63], v[148:149], v[162:163]
	scratch_load_b64 v[162:163], off, off   ; 8-byte Folded Reload
	v_add_f64_e32 v[148:149], v[134:135], v[174:175]
	v_add_f64_e64 v[40:41], v[36:37], -v[16:17]
	v_mul_u32_u24_e32 v135, 0xcccd, v43
	v_add_f64_e64 v[194:195], v[30:31], -v[6:7]
	v_add_f64_e64 v[46:47], v[46:47], -v[12:13]
	v_add_f64_e64 v[188:189], v[32:33], -v[8:9]
	v_add_f64_e32 v[28:29], v[234:235], v[28:29]
	v_add_f64_e32 v[30:31], v[236:237], v[30:31]
	;; [unrolled: 1-line block ×3, first 2 shown]
	v_fma_f64 v[150:151], v[58:59], s[10:11], v[190:191]
	v_fma_f64 v[186:187], v[92:93], s[2:3], v[226:227]
	v_fma_f64 v[174:175], v[80:81], s[10:11], v[160:161]
	v_fma_f64 v[160:161], v[80:81], s[2:3], v[160:161]
	v_add_f64_e32 v[22:23], v[127:128], v[22:23]
	v_fma_f64 v[127:128], v[50:51], s[10:11], v[218:219]
	v_fma_f64 v[216:217], v[92:93], s[10:11], v[226:227]
	;; [unrolled: 1-line block ×4, first 2 shown]
	v_add_f64_e32 v[12:13], v[224:225], v[12:13]
	v_fma_f64 v[224:225], v[114:115], s[2:3], v[250:251]
	v_fma_f64 v[226:227], v[90:91], s[2:3], v[244:245]
	v_add_f64_e32 v[82:83], v[210:211], v[82:83]
	v_fma_f64 v[210:211], v[74:75], s[2:3], v[230:231]
	v_fma_f64 v[212:213], v[88:89], s[10:11], v[232:233]
	;; [unrolled: 1-line block ×3, first 2 shown]
	scratch_load_b64 v[133:134], off, off offset:140 th:TH_LOAD_LU ; 8-byte Folded Reload
	v_add_f64_e32 v[34:35], v[125:126], v[34:35]
	v_fma_f64 v[125:126], v[56:57], s[2:3], v[184:185]
	v_add_f64_e32 v[40:41], v[117:118], v[40:41]
	v_add_f64_e32 v[117:118], v[140:141], v[164:165]
	v_mul_u32_u24_e32 v140, 0xcccd, v129
	v_fma_f64 v[164:165], v[48:49], s[2:3], v[84:85]
	v_fma_f64 v[84:85], v[48:49], s[10:11], v[84:85]
	v_mul_u32_u24_e32 v141, 0xcccd, v61
	v_add_f64_e32 v[131:132], v[131:132], v[194:195]
	v_fma_f64 v[194:195], v[74:75], s[10:11], v[230:231]
	v_add_f64_e32 v[28:29], v[28:29], v[4:5]
	v_add_f64_e32 v[30:31], v[30:31], v[6:7]
	v_fma_f64 v[4:5], v[106:107], s[2:3], v[252:253]
	v_fma_f64 v[6:7], v[104:105], s[10:11], v[248:249]
	s_wait_alu 0xfffe
	v_fma_f64 v[150:151], v[48:49], s[6:7], v[150:151]
	v_fma_f64 v[174:175], v[44:45], s[0:1], v[174:175]
	v_add_f64_e32 v[32:33], v[32:33], v[8:9]
	v_fma_f64 v[8:9], v[86:87], s[10:11], v[242:243]
	v_fma_f64 v[230:231], v[90:91], s[10:11], v[244:245]
	;; [unrolled: 1-line block ×3, first 2 shown]
	v_lshrrev_b32_e32 v140, 19, v140
	v_lshrrev_b32_e32 v141, 19, v141
	v_add_f64_e32 v[34:35], v[34:35], v[10:11]
	v_fma_f64 v[10:11], v[104:105], s[2:3], v[248:249]
	v_fma_f64 v[125:126], v[52:53], s[0:1], v[125:126]
	;; [unrolled: 1-line block ×3, first 2 shown]
	s_delay_alu instid0(VALU_DEP_2)
	v_fma_f64 v[125:126], v[108:109], s[12:13], v[125:126]
	s_wait_loadcnt 0x6
	v_and_b32_e32 v136, 0xffff, v204
	s_wait_loadcnt 0x5
	v_and_b32_e32 v137, 0xff, v198
	;; [unrolled: 2-line block ×3, first 2 shown]
	v_mul_u32_u24_e32 v139, 0xcccd, v136
	scratch_store_b32 off, v119, off offset:20 ; 4-byte Folded Spill
	s_wait_loadcnt 0x3
	v_and_b32_e32 v42, 0xffff, v254
	scratch_store_b32 off, v137, off offset:60 ; 4-byte Folded Spill
	v_mul_lo_u16 v137, 0xcd, v137
	s_clause 0x3
	scratch_store_b32 off, v129, off offset:84
	scratch_store_b32 off, v61, off offset:80
	;; [unrolled: 1-line block ×4, first 2 shown]
	v_mul_u32_u24_e32 v142, 0xcccd, v42
	v_lshrrev_b16 v42, 11, v137
	s_clause 0x2
	scratch_store_b32 off, v255, off offset:36
	scratch_store_b32 off, v43, off offset:68
	;; [unrolled: 1-line block ×3, first 2 shown]
	v_mul_lo_u16 v138, 0xcd, v119
	scratch_store_b32 off, v42, off offset:52 ; 4-byte Folded Spill
	v_add_f64_e32 v[119:120], v[120:121], v[178:179]
	v_add_f64_e32 v[121:122], v[122:123], v[182:183]
	v_fma_f64 v[182:183], v[56:57], s[10:11], v[184:185]
	v_lshrrev_b16 v137, 11, v138
	v_lshrrev_b32_e32 v138, 19, v139
	v_fma_f64 v[184:185], v[58:59], s[2:3], v[190:191]
	v_add_f64_e32 v[123:124], v[200:201], v[188:189]
	v_fma_f64 v[188:189], v[94:95], s[10:11], v[228:229]
	v_fma_f64 v[200:201], v[50:51], s[2:3], v[218:219]
	;; [unrolled: 1-line block ×7, first 2 shown]
	s_wait_loadcnt 0x2
	v_and_b32_e32 v130, 0xffff, v202
	scratch_store_b32 off, v136, off offset:92 ; 4-byte Folded Spill
	v_mul_u32_u24_e32 v136, 0xcccd, v60
	v_add_f64_e32 v[60:61], v[152:153], v[192:193]
	v_fma_f64 v[152:153], v[44:45], s[2:3], v[158:159]
	scratch_store_b32 off, v130, off offset:88 ; 4-byte Folded Spill
	v_mul_u32_u24_e32 v154, 0xcccd, v130
	v_mul_lo_u16 v130, v42, 10
	scratch_load_b64 v[42:43], off, off offset:108 th:TH_LOAD_LU ; 8-byte Folded Reload
	v_fma_f64 v[157:158], v[44:45], s[10:11], v[158:159]
	v_fma_f64 v[44:45], v[44:45], s[6:7], v[160:161]
	v_lshrrev_b32_e32 v139, 19, v154
	v_fma_f64 v[192:193], v[70:71], s[10:11], v[214:215]
	v_fma_f64 v[214:215], v[70:71], s[2:3], v[214:215]
	;; [unrolled: 1-line block ×11, first 2 shown]
	s_wait_loadcnt 0x2
	v_sub_nc_u16 v154, v162, v155
	v_fma_f64 v[162:163], v[46:47], s[10:11], v[166:167]
	v_fma_f64 v[166:167], v[46:47], s[2:3], v[166:167]
	;; [unrolled: 1-line block ×3, first 2 shown]
	s_delay_alu instid0(VALU_DEP_4)
	v_and_b32_e32 v129, 0xff, v154
	v_add_f64_e32 v[154:155], v[222:223], v[170:171]
	v_fma_f64 v[170:171], v[52:53], s[10:11], v[196:197]
	scratch_load_b64 v[196:197], off, off offset:148 th:TH_LOAD_LU ; 8-byte Folded Reload
	v_fma_f64 v[222:223], v[112:113], s[10:11], v[246:247]
	v_fma_f64 v[52:53], v[52:53], s[6:7], v[182:183]
	s_wait_loadcnt 0x2
	v_add_f64_e32 v[14:15], v[133:134], v[14:15]
	v_fma_f64 v[133:134], v[88:89], s[2:3], v[232:233]
	v_fma_f64 v[232:233], v[102:103], s[10:11], v[238:239]
	;; [unrolled: 1-line block ×10, first 2 shown]
	s_delay_alu instid0(VALU_DEP_4)
	v_fma_f64 v[133:134], v[62:63], s[12:13], v[133:134]
	s_wait_loadcnt 0x1
	v_add_f64_e32 v[24:25], v[42:43], v[24:25]
	scratch_load_b64 v[42:43], off, off offset:116 th:TH_LOAD_LU ; 8-byte Folded Reload
	v_add_f64_e32 v[24:25], v[24:25], v[0:1]
	v_fma_f64 v[0:1], v[112:113], s[2:3], v[246:247]
	s_wait_loadcnt 0x1
	v_add_f64_e32 v[20:21], v[196:197], v[20:21]
	v_fma_f64 v[196:197], v[54:55], s[2:3], v[220:221]
	v_fma_f64 v[220:221], v[106:107], s[10:11], v[252:253]
	v_mov_b32_e32 v253, v205
	v_fma_f64 v[182:183], v[104:105], s[0:1], v[0:1]
	v_fma_f64 v[104:105], v[104:105], s[6:7], v[222:223]
	v_add_f64_e32 v[0:1], v[12:13], v[20:21]
	v_add_f64_e64 v[4:5], v[12:13], -v[20:21]
	v_add_f64_e64 v[20:21], v[28:29], -v[32:33]
	v_fma_f64 v[180:181], v[70:71], s[6:7], v[196:197]
	v_fma_f64 v[70:71], v[70:71], s[0:1], v[206:207]
	v_fma_f64 v[104:105], v[119:120], s[12:13], v[104:105]
	s_wait_loadcnt 0x0
	v_add_f64_e32 v[26:27], v[42:43], v[26:27]
	scratch_load_b64 v[42:43], off, off offset:124 th:TH_LOAD_LU ; 8-byte Folded Reload
	v_add_f64_e32 v[26:27], v[26:27], v[2:3]
	v_fma_f64 v[2:3], v[114:115], s[10:11], v[250:251]
	v_fma_f64 v[114:115], v[114:115], s[0:1], v[220:221]
	s_delay_alu instid0(VALU_DEP_2) | instskip(SKIP_2) | instid1(VALU_DEP_2)
	v_fma_f64 v[184:185], v[106:107], s[6:7], v[2:3]
	v_fma_f64 v[106:107], v[106:107], s[0:1], v[224:225]
	v_add_f64_e32 v[2:3], v[14:15], v[22:23]
	v_fma_f64 v[106:107], v[121:122], s[12:13], v[106:107]
	s_delay_alu instid0(VALU_DEP_4)
	v_fma_f64 v[121:122], v[121:122], s[12:13], v[184:185]
	v_mul_f64_e32 v[184:185], s[14:15], v[104:105]
	s_wait_loadcnt 0x0
	v_add_f64_e32 v[36:37], v[42:43], v[36:37]
	scratch_load_b64 v[42:43], off, off offset:132 th:TH_LOAD_LU ; 8-byte Folded Reload
	v_add_f64_e32 v[16:17], v[36:37], v[16:17]
	v_fma_f64 v[36:37], v[102:103], s[2:3], v[238:239]
	s_delay_alu instid0(VALU_DEP_2) | instskip(NEXT) | instid1(VALU_DEP_2)
	v_add_f64_e64 v[12:13], v[24:25], -v[16:17]
	v_fma_f64 v[36:37], v[86:87], s[0:1], v[36:37]
	v_fma_f64 v[86:87], v[86:87], s[6:7], v[232:233]
	s_wait_loadcnt 0x0
	v_add_f64_e32 v[38:39], v[42:43], v[38:39]
	scratch_load_b64 v[42:43], off, off offset:96 th:TH_LOAD_LU ; 8-byte Folded Reload
	global_wb scope:SCOPE_SE
	s_wait_loadcnt 0x0
	s_wait_storecnt 0x0
	s_barrier_signal -1
	s_barrier_wait -1
	global_inv scope:SCOPE_SE
	v_add_f64_e32 v[18:19], v[38:39], v[18:19]
	v_fma_f64 v[38:39], v[100:101], s[10:11], v[240:241]
	s_delay_alu instid0(VALU_DEP_1)
	v_fma_f64 v[38:39], v[90:91], s[6:7], v[38:39]
	v_fma_f64 v[90:91], v[90:91], s[0:1], v[234:235]
	;; [unrolled: 1-line block ×13, first 2 shown]
	v_add_f64_e64 v[6:7], v[14:15], -v[22:23]
	v_add_f64_e32 v[8:9], v[24:25], v[16:17]
	v_add_f64_e32 v[10:11], v[26:27], v[18:19]
	v_add_f64_e64 v[14:15], v[26:27], -v[18:19]
	v_fma_f64 v[26:27], v[62:63], s[12:13], v[94:95]
	v_add_f64_e32 v[16:17], v[28:29], v[32:33]
	v_add_f64_e32 v[18:19], v[30:31], v[34:35]
	v_add_f64_e64 v[22:23], v[30:31], -v[34:35]
	v_mul_f64_e32 v[30:31], s[10:11], v[170:171]
	v_fma_f64 v[32:33], v[64:65], s[12:13], v[84:85]
	v_mul_f64_e32 v[84:85], s[12:13], v[56:57]
	v_fma_f64 v[64:65], v[64:65], s[12:13], v[80:81]
	v_fma_f64 v[50:51], v[50:51], s[6:7], v[208:209]
	;; [unrolled: 1-line block ×3, first 2 shown]
	v_mul_f64_e32 v[80:81], s[2:3], v[133:134]
	v_fma_f64 v[159:160], v[46:47], s[6:7], v[178:179]
	v_fma_f64 v[178:179], v[92:93], s[0:1], v[194:195]
	;; [unrolled: 1-line block ×9, first 2 shown]
	v_mul_f64_e32 v[112:113], s[6:7], v[125:126]
	v_mul_f64_e32 v[28:29], s[2:3], v[163:164]
	v_fma_f64 v[54:55], v[54:55], s[0:1], v[214:215]
	v_mul_f64_e32 v[150:151], s[14:15], v[48:49]
	v_fma_f64 v[192:193], v[100:101], s[6:7], v[226:227]
	v_fma_f64 v[100:101], v[100:101], s[0:1], v[230:231]
	;; [unrolled: 1-line block ×15, first 2 shown]
	v_mul_f64_e32 v[110:111], s[14:15], v[125:126]
	v_mul_f64_e32 v[114:115], s[12:13], v[58:59]
	;; [unrolled: 1-line block ×3, first 2 shown]
	v_fma_f64 v[119:120], v[78:79], s[12:13], v[174:175]
	v_fma_f64 v[78:79], v[96:97], s[12:13], v[161:162]
	v_mul_f64_e32 v[96:97], s[14:15], v[108:109]
	v_mul_f64_e32 v[108:109], s[6:7], v[108:109]
	v_fma_f64 v[46:47], v[146:147], s[12:13], v[46:47]
	v_mul_f64_e32 v[159:160], s[12:13], v[26:27]
	v_mul_f64_e32 v[167:168], s[14:15], v[62:63]
	;; [unrolled: 3-line block ×3, first 2 shown]
	v_mul_f64_e32 v[186:187], s[14:15], v[106:107]
	v_fma_f64 v[169:170], v[170:171], s[12:13], v[28:29]
	v_fma_f64 v[58:59], v[58:59], s[2:3], -v[84:85]
	v_fma_f64 v[84:85], v[144:145], s[12:13], v[54:55]
	v_fma_f64 v[144:145], v[131:132], s[12:13], v[192:193]
	;; [unrolled: 1-line block ×3, first 2 shown]
	v_mul_f64_e32 v[146:147], s[10:11], v[157:158]
	v_mul_f64_e32 v[42:43], s[12:13], v[24:25]
	;; [unrolled: 1-line block ×7, first 2 shown]
	v_fma_f64 v[110:111], v[88:89], s[0:1], v[110:111]
	v_fma_f64 v[88:89], v[88:89], s[14:15], v[112:113]
	v_fma_f64 v[56:57], v[56:57], s[10:11], -v[114:115]
	v_fma_f64 v[112:113], v[72:73], s[12:13], v[127:128]
	v_fma_f64 v[127:128], v[76:77], s[12:13], v[180:181]
	;; [unrolled: 1-line block ×3, first 2 shown]
	v_fma_f64 v[54:55], v[48:49], s[0:1], -v[125:126]
	v_fma_f64 v[68:69], v[52:53], s[6:7], -v[150:151]
	v_fma_f64 v[70:71], v[78:79], s[0:1], v[96:97]
	v_fma_f64 v[72:73], v[78:79], s[14:15], v[108:109]
	;; [unrolled: 1-line block ×3, first 2 shown]
	v_fma_f64 v[100:101], v[24:25], s[10:11], -v[159:160]
	v_fma_f64 v[80:81], v[154:155], s[12:13], v[102:103]
	v_fma_f64 v[102:103], v[40:41], s[6:7], -v[167:168]
	v_fma_f64 v[114:115], v[117:118], s[12:13], v[36:37]
	v_fma_f64 v[125:126], v[148:149], s[12:13], v[38:39]
	;; [unrolled: 1-line block ×4, first 2 shown]
	v_fma_f64 v[154:155], v[60:61], s[2:3], -v[178:179]
	v_fma_f64 v[117:118], v[117:118], s[12:13], v[86:87]
	v_fma_f64 v[159:160], v[106:107], s[0:1], -v[184:185]
	v_add_f64_e32 v[40:41], v[44:45], v[58:59]
	v_add_f64_e64 v[36:37], v[119:120], -v[169:170]
	v_add_f64_e64 v[38:39], v[123:124], -v[163:164]
	v_add_f64_e64 v[44:45], v[44:45], -v[58:59]
	v_fma_f64 v[78:79], v[133:134], s[12:13], v[146:147]
	v_fma_f64 v[96:97], v[26:27], s[2:3], -v[42:43]
	v_fma_f64 v[133:134], v[148:149], s[12:13], v[90:91]
	v_fma_f64 v[90:91], v[62:63], s[0:1], -v[165:166]
	v_fma_f64 v[146:147], v[121:122], s[0:1], v[172:173]
	v_fma_f64 v[121:122], v[121:122], s[14:15], v[74:75]
	;; [unrolled: 1-line block ×3, first 2 shown]
	v_fma_f64 v[157:158], v[98:99], s[10:11], -v[182:183]
	v_fma_f64 v[165:166], v[104:105], s[6:7], -v[186:187]
	v_add_f64_e32 v[24:25], v[32:33], v[110:111]
	v_add_f64_e32 v[26:27], v[34:35], v[88:89]
	v_add_f64_e64 v[28:29], v[32:33], -v[110:111]
	v_add_f64_e64 v[30:31], v[34:35], -v[88:89]
	v_add_f64_e32 v[32:33], v[119:120], v[169:170]
	v_add_f64_e32 v[34:35], v[123:124], v[163:164]
	;; [unrolled: 1-line block ×5, first 2 shown]
	v_add_f64_e64 v[46:47], v[46:47], -v[56:57]
	v_add_f64_e64 v[52:53], v[64:65], -v[54:55]
	;; [unrolled: 1-line block ×3, first 2 shown]
	v_add_f64_e32 v[56:57], v[152:153], v[70:71]
	v_add_f64_e32 v[58:59], v[161:162], v[72:73]
	;; [unrolled: 1-line block ×3, first 2 shown]
	v_add_f64_e64 v[62:63], v[161:162], -v[72:73]
	v_add_f64_e32 v[74:75], v[188:189], v[100:101]
	v_add_f64_e32 v[88:89], v[84:85], v[102:103]
	v_add_f64_e64 v[60:61], v[152:153], -v[70:71]
	v_add_f64_e64 v[68:69], v[112:113], -v[76:77]
	v_add_f64_e64 v[92:93], v[84:85], -v[102:103]
	v_add_f64_e32 v[104:105], v[144:145], v[150:151]
	v_add_f64_e32 v[110:111], v[80:81], v[154:155]
	v_add_f64_e64 v[152:153], v[117:118], -v[159:160]
	v_lshrrev_b32_e32 v84, 19, v136
	v_lshrrev_b32_e32 v85, 19, v135
	s_mov_b32 s2, 0xe8584caa
	s_mov_b32 s3, 0x3febb67a
	;; [unrolled: 1-line block ×3, first 2 shown]
	v_add_f64_e32 v[66:67], v[127:128], v[78:79]
	v_add_f64_e32 v[72:73], v[180:181], v[96:97]
	v_add_f64_e64 v[70:71], v[127:128], -v[78:79]
	v_add_f64_e32 v[86:87], v[82:83], v[90:91]
	v_add_f64_e64 v[76:77], v[180:181], -v[96:97]
	v_add_f64_e64 v[78:79], v[188:189], -v[100:101]
	;; [unrolled: 1-line block ×3, first 2 shown]
	v_add_f64_e32 v[94:95], v[114:115], v[146:147]
	v_add_f64_e32 v[96:97], v[125:126], v[121:122]
	;; [unrolled: 1-line block ×4, first 2 shown]
	v_add_f64_e64 v[98:99], v[114:115], -v[146:147]
	v_add_f64_e64 v[106:107], v[108:109], -v[148:149]
	;; [unrolled: 1-line block ×3, first 2 shown]
	v_add_f64_e32 v[144:145], v[117:118], v[159:160]
	v_add_f64_e32 v[146:147], v[133:134], v[165:166]
	v_add_f64_e64 v[100:101], v[125:126], -v[121:122]
	v_add_f64_e64 v[148:149], v[80:81], -v[154:155]
	;; [unrolled: 1-line block ×4, first 2 shown]
	v_sub_nc_u16 v80, v198, v130
	ds_store_b128 v143, v[0:3]
	ds_store_b128 v143, v[24:27] offset:16
	ds_store_b128 v143, v[32:35] offset:32
	ds_store_b128 v143, v[40:43] offset:48
	ds_store_b128 v143, v[4:7] offset:80
	ds_store_b128 v143, v[48:51] offset:64
	ds_store_b128 v143, v[28:31] offset:96
	ds_store_b128 v143, v[36:39] offset:112
	ds_store_b128 v143, v[44:47] offset:128
	ds_store_b128 v143, v[52:55] offset:144
	ds_store_b128 v143, v[8:11] offset:12960
	ds_store_b128 v143, v[56:59] offset:12976
	ds_store_b128 v143, v[64:67] offset:12992
	ds_store_b128 v143, v[72:75] offset:13008
	ds_store_b128 v143, v[12:15] offset:13040
	ds_store_b128 v143, v[86:89] offset:13024
	ds_store_b128 v143, v[60:63] offset:13056
	ds_store_b128 v143, v[68:71] offset:13072
	ds_store_b128 v143, v[76:79] offset:13088
	ds_store_b128 v143, v[90:93] offset:13104
	ds_store_b128 v143, v[16:19] offset:25920
	ds_store_b128 v143, v[94:97] offset:25936
	ds_store_b128 v143, v[102:105] offset:25952
	ds_store_b128 v143, v[110:113] offset:25968
	ds_store_b128 v143, v[20:23] offset:26000
	ds_store_b128 v143, v[144:147] offset:25984
	ds_store_b128 v143, v[98:101] offset:26016
	ds_store_b128 v143, v[106:109] offset:26032
	ds_store_b128 v143, v[148:151] offset:26048
	ds_store_b128 v143, v[152:155] offset:26064
	v_and_b32_e32 v86, 0xff, v80
	v_mul_lo_u16 v4, v137, 10
	v_lshrrev_b32_e32 v87, 19, v142
	v_mul_lo_u16 v5, v138, 10
	v_mul_lo_u16 v6, v139, 10
	v_lshlrev_b32_e32 v7, 5, v86
	v_mul_lo_u16 v8, v140, 10
	v_sub_nc_u16 v4, v199, v4
	v_mul_lo_u16 v9, v141, 10
	v_mul_lo_u16 v10, v84, 10
	;; [unrolled: 1-line block ×4, first 2 shown]
	global_wb scope:SCOPE_SE
	s_wait_dscnt 0x0
	s_barrier_signal -1
	s_barrier_wait -1
	global_inv scope:SCOPE_SE
	v_sub_nc_u16 v5, v204, v5
	s_clause 0x1
	global_load_b128 v[48:51], v7, s[4:5]
	global_load_b128 v[68:71], v7, s[4:5] offset:16
	v_and_b32_e32 v88, 0xff, v4
	v_sub_nc_u16 v4, v202, v6
	v_sub_nc_u16 v6, v203, v8
	;; [unrolled: 1-line block ×6, first 2 shown]
	v_and_b32_e32 v89, 0xffff, v5
	v_lshlrev_b32_e32 v5, 5, v88
	v_and_b32_e32 v91, 0xffff, v4
	v_and_b32_e32 v102, 0xffff, v6
	;; [unrolled: 1-line block ×6, first 2 shown]
	v_lshlrev_b32_e32 v81, 5, v129
	v_lshlrev_b32_e32 v4, 5, v89
	s_clause 0x1
	global_load_b128 v[72:75], v5, s[4:5]
	global_load_b128 v[64:67], v5, s[4:5] offset:16
	v_lshlrev_b32_e32 v5, 5, v91
	v_lshlrev_b32_e32 v8, 5, v102
	;; [unrolled: 1-line block ×6, first 2 shown]
	s_clause 0xf
	global_load_b128 v[0:3], v81, s[4:5]
	global_load_b128 v[32:35], v81, s[4:5] offset:16
	global_load_b128 v[56:59], v4, s[4:5]
	global_load_b128 v[52:55], v4, s[4:5] offset:16
	;; [unrolled: 2-line block ×8, first 2 shown]
	s_clause 0x8
	scratch_load_b32 v80, off, off offset:48 th:TH_LOAD_LU
	scratch_load_b32 v95, off, off offset:92 th:TH_LOAD_LU
	;; [unrolled: 1-line block ×9, first 2 shown]
	v_mov_b32_e32 v114, v129
	v_mul_u32_u24_e32 v130, 0x1e0, v84
	v_mul_u32_u24_e32 v197, 0x1e0, v85
	v_mov_b32_e32 v97, v199
	v_mul_u32_u24_e32 v199, 0x1e0, v87
	v_lshlrev_b32_e32 v85, 4, v114
	v_mul_u32_u24_e32 v111, 0x1e0, v139
	v_lshlrev_b32_e32 v91, 4, v91
	v_lshlrev_b32_e32 v117, 4, v102
	;; [unrolled: 1-line block ×5, first 2 shown]
	v_add3_u32 v91, 0, v111, v91
	v_mul_u32_u24_e32 v115, 0x1e0, v140
	v_mul_u32_u24_e32 v129, 0x1e0, v141
	v_lshlrev_b32_e32 v88, 4, v88
	v_lshlrev_b32_e32 v89, 4, v89
	v_lshlrev_b32_e32 v248, 4, v106
	v_add3_u32 v252, 0, v115, v117
	s_wait_alu 0xfffe
	s_mov_b32 s6, s2
	ds_load_b128 v[102:105], v116 offset:14256
	ds_load_b128 v[111:114], v116 offset:27216
	s_wait_loadcnt_dscnt 0x1b00
	v_mul_f64_e32 v[117:118], v[113:114], v[70:71]
	v_mul_f64_e32 v[70:71], v[111:112], v[70:71]
	s_wait_loadcnt 0x8
	v_mul_lo_u16 v80, 0x89, v80
	s_wait_loadcnt 0x6
	v_mul_u32_u24_e32 v81, 0x8889, v94
	s_wait_loadcnt 0x5
	v_mul_u32_u24_e32 v82, 0x8889, v96
	;; [unrolled: 2-line block ×3, first 2 shown]
	v_lshrrev_b16 v90, 12, v80
	scratch_load_b32 v80, off, off offset:60 th:TH_LOAD_LU ; 4-byte Folded Reload
	v_lshrrev_b32_e32 v255, 20, v81
	s_clause 0x1
	scratch_load_b32 v81, off, off offset:52 th:TH_LOAD_LU
	scratch_load_b64 v[108:109], off, off
	s_wait_loadcnt 0x3
	v_and_b32_e32 v101, 0xffff, v101
	v_mul_lo_u16 v107, v90, 30
	v_mul_u32_u24_e32 v98, 0x8889, v204
	v_mul_u32_u24_e32 v99, 0x8889, v203
	;; [unrolled: 1-line block ×3, first 2 shown]
	s_delay_alu instid0(VALU_DEP_3) | instskip(NEXT) | instid1(VALU_DEP_3)
	v_lshrrev_b32_e32 v98, 20, v98
	v_lshrrev_b32_e32 v99, 20, v99
	s_delay_alu instid0(VALU_DEP_3)
	v_lshrrev_b32_e32 v100, 20, v100
	s_wait_loadcnt 0x2
	v_mul_lo_u16 v92, 0x89, v80
	scratch_load_b32 v80, off, off offset:20 ; 4-byte Folded Reload
	s_wait_loadcnt 0x2
	v_and_b32_e32 v81, 0xffff, v81
	s_delay_alu instid0(VALU_DEP_1) | instskip(SKIP_3) | instid1(VALU_DEP_2)
	v_mul_u32_u24_e32 v81, 0x1e0, v81
	s_wait_loadcnt 0x0
	v_mul_lo_u16 v93, 0x89, v80
	v_mul_u32_u24_e32 v80, 0x8889, v95
	v_lshrrev_b16 v110, 12, v93
	scratch_store_b32 off, v90, off offset:48 ; 4-byte Folded Spill
	v_lshrrev_b16 v90, 12, v92
	v_lshrrev_b32_e32 v254, 20, v80
	v_mul_u32_u24_e32 v80, 0x1e0, v101
	scratch_store_b32 off, v110, off offset:60 ; 4-byte Folded Spill
	v_sub_nc_u16 v101, v108, v107
	scratch_store_b32 off, v90, off offset:56 ; 4-byte Folded Spill
	v_mul_lo_u16 v84, v90, 30
	v_mov_b32_e32 v90, v198
	v_mul_lo_u16 v242, v110, 30
	ds_load_b128 v[107:110], v116 offset:12960
	v_add3_u32 v244, 0, v80, v85
	v_lshlrev_b32_e32 v80, 4, v86
	v_sub_nc_u16 v198, v90, v84
	ds_load_b128 v[84:87], v116 offset:25920
	v_lshrrev_b32_e32 v93, 20, v82
	v_and_b32_e32 v82, 0xffff, v137
	v_lshrrev_b32_e32 v92, 20, v83
	v_mul_u32_u24_e32 v83, 0x1e0, v138
	ds_load_b128 v[133:136], v116 offset:15552
	ds_load_b128 v[137:140], v116 offset:16848
	;; [unrolled: 1-line block ×4, first 2 shown]
	v_add3_u32 v249, 0, v81, v80
	v_mul_u32_u24_e32 v82, 0x1e0, v82
	ds_load_b128 v[149:152], v116 offset:18144
	ds_load_b128 v[153:156], v116 offset:19440
	;; [unrolled: 1-line block ×4, first 2 shown]
	v_add3_u32 v251, 0, v83, v89
	ds_load_b128 v[165:168], v116 offset:20736
	ds_load_b128 v[169:172], v116 offset:22032
	;; [unrolled: 1-line block ×8, first 2 shown]
	v_add3_u32 v250, 0, v82, v88
	v_mul_f64_e32 v[88:89], v[104:105], v[50:51]
	v_mul_f64_e32 v[50:51], v[102:103], v[50:51]
	v_and_b32_e32 v101, 0xff, v101
	s_wait_dscnt 0x11
	v_mul_f64_e32 v[80:81], v[109:110], v[2:3]
	v_mul_f64_e32 v[2:3], v[107:108], v[2:3]
	s_wait_dscnt 0x10
	v_mul_f64_e32 v[82:83], v[86:87], v[34:35]
	v_mul_f64_e32 v[34:35], v[84:85], v[34:35]
	s_wait_dscnt 0xf
	v_mul_f64_e32 v[119:120], v[135:136], v[74:75]
	v_mul_f64_e32 v[74:75], v[133:134], v[74:75]
	s_wait_dscnt 0xd
	v_mul_f64_e32 v[121:122], v[143:144], v[66:67]
	v_mul_f64_e32 v[66:67], v[141:142], v[66:67]
	v_mul_f64_e32 v[123:124], v[139:140], v[58:59]
	v_mul_f64_e32 v[58:59], v[137:138], v[58:59]
	s_wait_dscnt 0xc
	v_mul_f64_e32 v[125:126], v[147:148], v[54:55]
	v_mul_f64_e32 v[127:128], v[145:146], v[54:55]
	s_wait_dscnt 0xb
	;; [unrolled: 3-line block ×3, first 2 shown]
	v_mul_f64_e32 v[206:207], v[159:160], v[14:15]
	v_mul_f64_e32 v[14:15], v[157:158], v[14:15]
	;; [unrolled: 1-line block ×4, first 2 shown]
	s_wait_dscnt 0x7
	v_mul_f64_e32 v[210:211], v[167:168], v[10:11]
	v_mul_f64_e32 v[212:213], v[165:166], v[10:11]
	s_wait_dscnt 0x4
	v_mul_f64_e32 v[214:215], v[177:178], v[42:43]
	s_wait_dscnt 0x3
	v_mul_f64_e32 v[216:217], v[183:184], v[30:31]
	v_mul_f64_e32 v[218:219], v[181:182], v[30:31]
	s_wait_dscnt 0x2
	v_mul_f64_e32 v[220:221], v[185:186], v[62:63]
	v_lshlrev_b32_e32 v243, 5, v101
	v_fma_f64 v[88:89], v[102:103], v[48:49], -v[88:89]
	v_fma_f64 v[102:103], v[104:105], v[48:49], v[50:51]
	v_mul_f64_e32 v[104:105], v[179:180], v[42:43]
	v_fma_f64 v[80:81], v[107:108], v[0:1], -v[80:81]
	v_fma_f64 v[106:107], v[109:110], v[0:1], v[2:3]
	v_mul_f64_e32 v[108:109], v[163:164], v[18:19]
	v_mul_f64_e32 v[18:19], v[161:162], v[18:19]
	v_fma_f64 v[82:83], v[84:85], v[32:33], -v[82:83]
	v_mul_f64_e32 v[84:85], v[175:176], v[38:39]
	v_mul_f64_e32 v[38:39], v[173:174], v[38:39]
	v_fma_f64 v[34:35], v[86:87], v[32:33], v[34:35]
	v_mul_f64_e32 v[86:87], v[171:172], v[22:23]
	v_mul_f64_e32 v[22:23], v[169:170], v[22:23]
	v_fma_f64 v[110:111], v[111:112], v[68:69], -v[117:118]
	v_fma_f64 v[112:113], v[113:114], v[68:69], v[70:71]
	s_wait_dscnt 0x1
	v_mul_f64_e32 v[114:115], v[191:192], v[26:27]
	v_mul_f64_e32 v[26:27], v[189:190], v[26:27]
	;; [unrolled: 1-line block ×3, first 2 shown]
	v_fma_f64 v[119:120], v[133:134], v[72:73], -v[119:120]
	s_wait_dscnt 0x0
	v_mul_f64_e32 v[133:134], v[195:196], v[78:79]
	v_mul_f64_e32 v[78:79], v[193:194], v[78:79]
	v_fma_f64 v[74:75], v[135:136], v[72:73], v[74:75]
	v_fma_f64 v[121:122], v[141:142], v[64:65], -v[121:122]
	v_fma_f64 v[135:136], v[143:144], v[64:65], v[66:67]
	v_fma_f64 v[123:124], v[137:138], v[56:57], -v[123:124]
	;; [unrolled: 2-line block ×7, first 2 shown]
	v_fma_f64 v[8:9], v[167:168], v[8:9], v[212:213]
	ds_load_b128 v[0:3], v116
	ds_load_b128 v[30:33], v116 offset:1296
	ds_load_b128 v[46:49], v116 offset:2592
	;; [unrolled: 1-line block ×9, first 2 shown]
	global_wb scope:SCOPE_SE
	s_wait_storecnt_dscnt 0x0
	s_barrier_signal -1
	v_fma_f64 v[108:109], v[161:162], v[16:17], -v[108:109]
	v_fma_f64 v[143:144], v[163:164], v[16:17], v[18:19]
	s_barrier_wait -1
	v_fma_f64 v[84:85], v[173:174], v[36:37], -v[84:85]
	v_fma_f64 v[36:37], v[175:176], v[36:37], v[38:39]
	v_fma_f64 v[38:39], v[177:178], v[40:41], -v[104:105]
	v_fma_f64 v[16:17], v[169:170], v[20:21], -v[86:87]
	v_fma_f64 v[18:19], v[171:172], v[20:21], v[22:23]
	v_fma_f64 v[40:41], v[179:180], v[40:41], v[214:215]
	v_fma_f64 v[20:21], v[181:182], v[28:29], -v[216:217]
	v_fma_f64 v[22:23], v[183:184], v[28:29], v[218:219]
	v_fma_f64 v[86:87], v[189:190], v[24:25], -v[114:115]
	;; [unrolled: 2-line block ×4, first 2 shown]
	v_fma_f64 v[76:77], v[195:196], v[76:77], v[78:79]
	v_add_f64_e32 v[28:29], v[80:81], v[82:83]
	v_add_f64_e32 v[78:79], v[106:107], v[34:35]
	;; [unrolled: 1-line block ×15, first 2 shown]
	v_add_f64_e64 v[167:168], v[58:59], -v[127:128]
	v_add_f64_e32 v[58:59], v[131:132], v[139:140]
	v_add_f64_e32 v[169:170], v[137:138], v[141:142]
	;; [unrolled: 1-line block ×11, first 2 shown]
	v_add_f64_e64 v[195:196], v[8:9], -v[36:37]
	v_add_f64_e32 v[8:9], v[16:17], v[38:39]
	v_add_f64_e32 v[206:207], v[18:19], v[40:41]
	v_add_f64_e64 v[106:107], v[106:107], -v[34:35]
	v_add_f64_e64 v[80:81], v[80:81], -v[82:83]
	v_add_f64_e32 v[216:217], v[20:21], v[86:87]
	v_add_f64_e32 v[218:219], v[22:23], v[104:105]
	v_add_f64_e64 v[102:103], v[102:103], -v[112:113]
	v_add_f64_e64 v[88:89], v[88:89], -v[110:111]
	v_add_f64_e32 v[224:225], v[24:25], v[60:61]
	v_add_f64_e32 v[226:227], v[26:27], v[76:77]
	v_fma_f64 v[240:241], v[28:29], -0.5, v[0:1]
	v_fma_f64 v[78:79], v[78:79], -0.5, v[2:3]
	v_add_f64_e32 v[2:3], v[114:115], v[34:35]
	v_add_f64_e32 v[0:1], v[117:118], v[82:83]
	v_fma_f64 v[82:83], v[133:134], -0.5, v[30:31]
	v_fma_f64 v[114:115], v[145:146], -0.5, v[32:33]
	v_add_f64_e64 v[74:75], v[74:75], -v[135:136]
	v_add_f64_e64 v[119:120], v[119:120], -v[121:122]
	v_add_f64_e64 v[183:184], v[4:5], -v[143:144]
	v_add_f64_e32 v[193:194], v[42:43], v[6:7]
	v_add_f64_e64 v[200:201], v[6:7], -v[84:85]
	v_add_f64_e32 v[210:211], v[66:67], v[16:17]
	v_add_f64_e32 v[230:231], v[70:71], v[24:25]
	;; [unrolled: 1-line block ×4, first 2 shown]
	v_fma_f64 v[110:111], v[151:152], -0.5, v[46:47]
	v_fma_f64 v[112:113], v[153:154], -0.5, v[48:49]
	v_add_f64_e64 v[123:124], v[123:124], -v[125:126]
	v_add_f64_e32 v[181:182], v[62:63], v[14:15]
	v_add_f64_e64 v[185:186], v[14:15], -v[108:109]
	v_add_f64_e32 v[14:15], v[157:158], v[121:122]
	v_fma_f64 v[117:118], v[159:160], -0.5, v[54:55]
	v_fma_f64 v[121:122], v[161:162], -0.5, v[56:57]
	v_add_f64_e64 v[137:138], v[137:138], -v[141:142]
	v_add_f64_e64 v[131:132], v[131:132], -v[139:140]
	v_add_f64_e32 v[208:209], v[68:69], v[18:19]
	v_add_f64_e64 v[212:213], v[18:19], -v[40:41]
	v_add_f64_e32 v[222:223], v[10:11], v[20:21]
	v_add_f64_e32 v[228:229], v[72:73], v[26:27]
	v_add_f64_e64 v[234:235], v[20:21], -v[86:87]
	v_add_f64_e32 v[20:21], v[163:164], v[127:128]
	v_add_f64_e32 v[18:19], v[165:166], v[125:126]
	v_fma_f64 v[125:126], v[58:59], -0.5, v[50:51]
	v_fma_f64 v[127:128], v[169:170], -0.5, v[52:53]
	v_add_f64_e64 v[214:215], v[16:17], -v[38:39]
	v_add_f64_e32 v[220:221], v[12:13], v[22:23]
	v_add_f64_e32 v[16:17], v[155:156], v[135:136]
	v_fma_f64 v[133:134], v[175:176], -0.5, v[62:63]
	v_fma_f64 v[135:136], v[177:178], -0.5, v[64:65]
	v_add_f64_e64 v[232:233], v[22:23], -v[104:105]
	v_add_f64_e64 v[238:239], v[24:25], -v[60:61]
	v_add_f64_e32 v[24:25], v[171:172], v[141:142]
	v_add_f64_e32 v[22:23], v[173:174], v[139:140]
	v_fma_f64 v[139:140], v[187:188], -0.5, v[42:43]
	v_fma_f64 v[141:142], v[189:190], -0.5, v[44:45]
	v_add_f64_e32 v[28:29], v[179:180], v[143:144]
	v_fma_f64 v[143:144], v[8:9], -0.5, v[66:67]
	v_fma_f64 v[145:146], v[206:207], -0.5, v[68:69]
	;; [unrolled: 1-line block ×4, first 2 shown]
	v_add_f64_e64 v[236:237], v[26:27], -v[76:77]
	v_fma_f64 v[155:156], v[224:225], -0.5, v[70:71]
	v_fma_f64 v[159:160], v[226:227], -0.5, v[72:73]
	v_fma_f64 v[42:43], v[106:107], s[2:3], v[240:241]
	s_wait_alu 0xfffe
	v_fma_f64 v[44:45], v[80:81], s[6:7], v[78:79]
	v_fma_f64 v[46:47], v[106:107], s[6:7], v[240:241]
	;; [unrolled: 1-line block ×7, first 2 shown]
	v_add_f64_e32 v[34:35], v[210:211], v[38:39]
	v_add_f64_e32 v[38:39], v[230:231], v[60:61]
	v_fma_f64 v[58:59], v[74:75], s[2:3], v[110:111]
	v_fma_f64 v[60:61], v[119:120], s[6:7], v[112:113]
	;; [unrolled: 1-line block ×8, first 2 shown]
	v_add_f64_e32 v[32:33], v[191:192], v[36:37]
	v_add_f64_e32 v[36:37], v[208:209], v[40:41]
	;; [unrolled: 1-line block ×3, first 2 shown]
	v_fma_f64 v[74:75], v[137:138], s[2:3], v[125:126]
	v_fma_f64 v[76:77], v[131:132], s[6:7], v[127:128]
	v_add_f64_e32 v[30:31], v[193:194], v[84:85]
	v_add_f64_e32 v[8:9], v[222:223], v[86:87]
	v_fma_f64 v[84:85], v[137:138], s[6:7], v[125:126]
	v_fma_f64 v[86:87], v[131:132], s[2:3], v[127:128]
	v_add_f64_e32 v[26:27], v[181:182], v[108:109]
	v_add_f64_e32 v[10:11], v[220:221], v[104:105]
	v_fma_f64 v[102:103], v[183:184], s[2:3], v[133:134]
	v_fma_f64 v[104:105], v[185:186], s[6:7], v[135:136]
	;; [unrolled: 1-line block ×20, first 2 shown]
	v_add3_u32 v12, 0, v129, v245
	v_add3_u32 v13, 0, v130, v246
	;; [unrolled: 1-line block ×4, first 2 shown]
	global_inv scope:SCOPE_SE
	ds_store_b128 v244, v[0:3]
	ds_store_b128 v244, v[42:45] offset:160
	ds_store_b128 v244, v[46:49] offset:320
	ds_store_b128 v249, v[4:7]
	ds_store_b128 v249, v[50:53] offset:160
	ds_store_b128 v249, v[54:57] offset:320
	;; [unrolled: 3-line block ×10, first 2 shown]
	global_wb scope:SCOPE_SE
	s_wait_dscnt 0x0
	s_barrier_signal -1
	s_barrier_wait -1
	global_inv scope:SCOPE_SE
	s_clause 0x3
	scratch_load_b32 v252, off, off offset:24 th:TH_LOAD_LU
	scratch_load_b32 v246, off, off offset:32
	scratch_load_b32 v245, off, off offset:8
	;; [unrolled: 1-line block ×3, first 2 shown]
	v_mul_lo_u16 v8, v254, 30
	v_mul_lo_u16 v9, v255, 30
	v_sub_nc_u16 v14, v97, v242
	v_and_b32_e32 v109, 0xff, v198
	v_dual_mov_b32 v117, v254 :: v_dual_mov_b32 v254, v253
	s_clause 0x1
	global_load_b128 v[0:3], v243, s[4:5] offset:320
	global_load_b128 v[4:7], v243, s[4:5] offset:336
	v_and_b32_e32 v110, 0xff, v14
	v_lshlrev_b32_e32 v12, 5, v109
	scratch_store_b32 off, v254, off offset:72 ; 4-byte Folded Spill
	v_mov_b32_e32 v118, v255
	v_mul_lo_u16 v10, v93, 30
	v_mul_lo_u16 v11, v92, 30
	s_clause 0x1
	global_load_b128 v[24:27], v12, s[4:5] offset:320
	global_load_b128 v[64:67], v12, s[4:5] offset:336
	v_mul_lo_u16 v13, v98, 30
	v_mul_lo_u16 v15, v99, 30
	v_mul_lo_u16 v32, v100, 30
	v_dual_mov_b32 v250, v202 :: v_dual_mov_b32 v85, 0
	s_delay_alu instid0(VALU_DEP_4) | instskip(SKIP_2) | instid1(VALU_DEP_4)
	v_sub_nc_u16 v12, v254, v13
	v_mul_u32_u24_e32 v103, 0x2d83, v95
	v_mul_u32_u24_e32 v104, 0x2d83, v94
	;; [unrolled: 1-line block ×3, first 2 shown]
	v_mov_b32_e32 v89, v85
	v_and_b32_e32 v115, 0xffff, v12
	v_mul_u32_u24_e32 v202, 0x5a0, v92
	v_mov_b32_e32 v251, v97
	v_lshrrev_b32_e32 v106, 20, v83
	v_mov_b32_e32 v249, v204
	v_dual_mov_b32 v248, v203 :: v_dual_lshlrev_b32 v45, 5, v115
	v_mul_u32_u24_e32 v203, 0x5a0, v98
	v_mul_u32_u24_e32 v204, 0x5a0, v99
	;; [unrolled: 1-line block ×3, first 2 shown]
	v_mov_b32_e32 v247, v205
	v_mul_u32_u24_e32 v205, 0x5a0, v100
	v_lshlrev_b32_e32 v100, 4, v110
	v_lshlrev_b32_e32 v115, 4, v115
	v_lshrrev_b32_e32 v103, 20, v103
	v_mul_u32_u24_e32 v107, 0x2d83, v249
	v_mul_u32_u24_e32 v108, 0x2d83, v248
	v_lshrrev_b32_e32 v104, 20, v104
	s_delay_alu instid0(VALU_DEP_3) | instskip(NEXT) | instid1(VALU_DEP_3)
	v_lshrrev_b32_e32 v107, 20, v107
	v_lshrrev_b32_e32 v108, 20, v108
	s_wait_loadcnt 0x7
	v_sub_nc_u16 v8, v252, v8
	s_wait_loadcnt 0x6
	v_sub_nc_u16 v11, v246, v11
	;; [unrolled: 2-line block ×4, first 2 shown]
	v_and_b32_e32 v111, 0xffff, v8
	v_lshlrev_b32_e32 v8, 5, v110
	v_and_b32_e32 v112, 0xffff, v9
	s_delay_alu instid0(VALU_DEP_4)
	v_and_b32_e32 v113, 0xffff, v10
	v_and_b32_e32 v114, 0xffff, v11
	v_lshlrev_b32_e32 v9, 5, v111
	s_clause 0x1
	global_load_b128 v[68:71], v8, s[4:5] offset:320
	global_load_b128 v[60:63], v8, s[4:5] offset:336
	v_lshlrev_b32_e32 v8, 5, v112
	v_lshlrev_b32_e32 v34, 5, v114
	s_clause 0x2
	global_load_b128 v[40:43], v9, s[4:5] offset:320
	global_load_b128 v[28:31], v9, s[4:5] offset:336
	;; [unrolled: 1-line block ×3, first 2 shown]
	scratch_load_b32 v255, off, off offset:36 ; 4-byte Folded Reload
	v_lshlrev_b32_e32 v9, 5, v113
	global_load_b128 v[20:23], v8, s[4:5] offset:336
	v_lshlrev_b32_e32 v113, 4, v113
	v_lshlrev_b32_e32 v237, 4, v114
	s_wait_loadcnt 0x1
	v_sub_nc_u16 v33, v255, v15
	s_clause 0x1
	global_load_b128 v[12:15], v9, s[4:5] offset:320
	global_load_b128 v[8:11], v9, s[4:5] offset:336
	scratch_load_b32 v253, off, off offset:28 th:TH_LOAD_LU ; 4-byte Folded Reload
	s_clause 0x1
	global_load_b128 v[36:39], v34, s[4:5] offset:320
	global_load_b128 v[56:59], v45, s[4:5] offset:320
	v_and_b32_e32 v133, 0xffff, v33
	s_delay_alu instid0(VALU_DEP_1)
	v_lshlrev_b32_e32 v238, 4, v133
	s_wait_loadcnt 0x2
	v_sub_nc_u16 v44, v253, v32
	global_load_b128 v[32:35], v34, s[4:5] offset:336
	v_and_b32_e32 v134, 0xffff, v44
	v_lshlrev_b32_e32 v44, 5, v133
	s_clause 0x1
	global_load_b128 v[52:55], v45, s[4:5] offset:336
	global_load_b128 v[48:51], v44, s[4:5] offset:320
	v_lshlrev_b32_e32 v76, 5, v134
	s_clause 0x2
	global_load_b128 v[44:47], v44, s[4:5] offset:336
	global_load_b128 v[72:75], v76, s[4:5] offset:320
	;; [unrolled: 1-line block ×3, first 2 shown]
	s_clause 0x2
	scratch_load_b64 v[80:81], off, off
	scratch_load_b64 v[81:82], off, off
	scratch_load_b32 v83, off, off offset:56 th:TH_LOAD_LU
	v_lshlrev_b32_e32 v239, 4, v134
	ds_load_b128 v[129:132], v116 offset:27216
	s_wait_loadcnt 0x2
	v_add_nc_u32_e32 v80, -9, v80
	s_wait_loadcnt 0x1
	v_lshlrev_b32_e32 v84, 1, v81
	scratch_load_b64 v[81:82], off, off     ; 8-byte Folded Reload
	s_wait_loadcnt 0x0
	v_mul_u32_u24_e32 v82, 0x2d83, v96
	v_lshlrev_b32_e32 v96, 4, v101
	v_lshlrev_b32_e32 v101, 4, v111
	v_and_b32_e32 v83, 0xffff, v83
	v_lshlrev_b64_e32 v[86:87], 4, v[84:85]
	v_lshrrev_b32_e32 v105, 20, v82
	s_delay_alu instid0(VALU_DEP_3) | instskip(SKIP_2) | instid1(VALU_DEP_1)
	v_mul_u32_u24_e32 v83, 0x5a0, v83
	v_cmp_gt_u32_e64 s0, 9, v81
	s_wait_alu 0xf1ff
	v_cndmask_b32_e64 v91, v80, v90, s0
	scratch_load_b32 v80, off, off offset:20 th:TH_LOAD_LU ; 4-byte Folded Reload
	v_add_co_u32 v86, s0, s4, v86
	s_wait_alu 0xf1ff
	v_add_co_ci_u32_e64 v87, s0, s5, v87, s0
	v_lshlrev_b32_e32 v88, 1, v91
	s_wait_loadcnt 0x0
	v_mul_lo_u16 v102, 0xb7, v80
	scratch_load_b32 v80, off, off offset:48 th:TH_LOAD_LU ; 4-byte Folded Reload
	v_lshrrev_b16 v102, 14, v102
	s_wait_loadcnt 0x0
	v_and_b32_e32 v90, 0xffff, v80
	v_lshlrev_b64_e32 v[80:81], 4, v[88:89]
	scratch_load_b32 v88, off, off offset:60 th:TH_LOAD_LU ; 4-byte Folded Reload
	v_mul_u32_u24_e32 v89, 0x5a0, v117
	v_mul_u32_u24_e32 v117, 0x5a0, v93
	;; [unrolled: 1-line block ×3, first 2 shown]
	ds_load_b128 v[92:95], v116 offset:12960
	v_mul_u32_u24_e32 v90, 0x5a0, v118
	v_lshlrev_b32_e32 v118, 4, v112
	v_add3_u32 v242, 0, v89, v101
	v_add3_u32 v236, 0, v82, v96
	ds_load_b128 v[96:99], v116 offset:25920
	v_lshlrev_b32_e32 v82, 4, v109
	ds_load_b128 v[109:112], v116 offset:14256
	ds_load_b128 v[133:136], v116 offset:15552
	;; [unrolled: 1-line block ×5, first 2 shown]
	v_add3_u32 v243, 0, v117, v113
	s_wait_dscnt 0x7
	v_mul_f64_e32 v[113:114], v[131:132], v[66:67]
	v_add3_u32 v240, 0, v83, v82
	v_mul_f64_e32 v[66:67], v[129:130], v[66:67]
	ds_load_b128 v[149:152], v116 offset:18144
	ds_load_b128 v[153:156], v116 offset:19440
	;; [unrolled: 1-line block ×12, first 2 shown]
	v_add3_u32 v90, 0, v90, v118
	s_wait_dscnt 0x12
	v_mul_f64_e32 v[82:83], v[94:95], v[2:3]
	v_mul_f64_e32 v[2:3], v[92:93], v[2:3]
	s_wait_dscnt 0xf
	v_mul_f64_e32 v[117:118], v[135:136], v[70:71]
	v_mul_f64_e32 v[70:71], v[133:134], v[70:71]
	;; [unrolled: 3-line block ×3, first 2 shown]
	v_mul_f64_e32 v[121:122], v[139:140], v[42:43]
	v_mul_f64_e32 v[42:43], v[137:138], v[42:43]
	s_wait_dscnt 0xc
	v_mul_f64_e32 v[123:124], v[147:148], v[30:31]
	v_mul_f64_e32 v[30:31], v[145:146], v[30:31]
	s_wait_dscnt 0xb
	;; [unrolled: 3-line block ×3, first 2 shown]
	v_mul_f64_e32 v[127:128], v[159:160], v[22:23]
	v_mul_f64_e32 v[197:198], v[157:158], v[22:23]
	;; [unrolled: 1-line block ×4, first 2 shown]
	s_wait_dscnt 0x8
	v_mul_f64_e32 v[208:209], v[163:164], v[10:11]
	v_mul_f64_e32 v[10:11], v[161:162], v[10:11]
	s_wait_dscnt 0x7
	v_mul_f64_e32 v[210:211], v[165:166], v[38:39]
	s_wait_dscnt 0x5
	v_mul_f64_e32 v[212:213], v[175:176], v[34:35]
	v_mul_f64_e32 v[34:35], v[173:174], v[34:35]
	;; [unrolled: 1-line block ×3, first 2 shown]
	s_wait_dscnt 0x4
	v_mul_f64_e32 v[216:217], v[179:180], v[54:55]
	v_mul_f64_e32 v[54:55], v[177:178], v[54:55]
	s_wait_dscnt 0x1
	v_mul_f64_e32 v[218:219], v[191:192], v[46:47]
	v_mul_f64_e32 v[46:47], v[189:190], v[46:47]
	v_fma_f64 v[113:114], v[129:130], v[64:65], -v[113:114]
	v_fma_f64 v[129:130], v[131:132], v[64:65], v[66:67]
	v_mul_f64_e32 v[131:132], v[187:188], v[74:75]
	v_mul_f64_e32 v[74:75], v[185:186], v[74:75]
	s_wait_dscnt 0x0
	v_mul_f64_e32 v[220:221], v[195:196], v[78:79]
	v_mul_f64_e32 v[78:79], v[193:194], v[78:79]
	v_fma_f64 v[82:83], v[92:93], v[0:1], -v[82:83]
	v_fma_f64 v[92:93], v[94:95], v[0:1], v[2:3]
	v_mul_f64_e32 v[94:95], v[167:168], v[38:39]
	v_fma_f64 v[117:118], v[133:134], v[68:69], -v[117:118]
	v_fma_f64 v[70:71], v[135:136], v[68:69], v[70:71]
	v_fma_f64 v[119:120], v[141:142], v[60:61], -v[119:120]
	v_fma_f64 v[133:134], v[143:144], v[60:61], v[62:63]
	;; [unrolled: 2-line block ×8, first 2 shown]
	v_fma_f64 v[10:11], v[167:168], v[36:37], v[210:211]
	v_fma_f64 v[34:35], v[175:176], v[32:33], v[34:35]
	v_fma_f64 v[8:9], v[165:166], v[36:37], -v[94:95]
	v_fma_f64 v[36:37], v[173:174], v[32:33], -v[212:213]
	;; [unrolled: 1-line block ×3, first 2 shown]
	v_fma_f64 v[52:53], v[179:180], v[52:53], v[54:55]
	v_add_f64_e32 v[153:154], v[117:118], v[119:120]
	v_add_f64_e32 v[155:156], v[70:71], v[133:134]
	;; [unrolled: 1-line block ×6, first 2 shown]
	s_wait_loadcnt 0x0
	v_and_b32_e32 v88, 0xffff, v88
	s_delay_alu instid0(VALU_DEP_1) | instskip(NEXT) | instid1(VALU_DEP_1)
	v_mul_u32_u24_e32 v88, 0x5a0, v88
	v_add3_u32 v241, 0, v88, v100
	v_mul_f64_e32 v[88:89], v[98:99], v[6:7]
	v_mul_f64_e32 v[6:7], v[96:97], v[6:7]
	;; [unrolled: 1-line block ×4, first 2 shown]
	s_delay_alu instid0(VALU_DEP_4) | instskip(NEXT) | instid1(VALU_DEP_4)
	v_fma_f64 v[88:89], v[96:97], v[4:5], -v[88:89]
	v_fma_f64 v[96:97], v[98:99], v[4:5], v[6:7]
	v_mul_f64_e32 v[98:99], v[171:172], v[58:59]
	v_fma_f64 v[100:101], v[109:110], v[24:25], -v[100:101]
	v_fma_f64 v[109:110], v[111:112], v[24:25], v[26:27]
	v_mul_f64_e32 v[111:112], v[183:184], v[50:51]
	v_mul_f64_e32 v[50:51], v[181:182], v[50:51]
	ds_load_b128 v[0:3], v116
	ds_load_b128 v[4:7], v116 offset:1296
	ds_load_b128 v[22:25], v116 offset:2592
	ds_load_b128 v[38:41], v116 offset:3888
	ds_load_b128 v[26:29], v116 offset:5184
	ds_load_b128 v[58:61], v116 offset:6480
	ds_load_b128 v[14:17], v116 offset:7776
	ds_load_b128 v[62:65], v116 offset:9072
	ds_load_b128 v[18:21], v116 offset:10368
	ds_load_b128 v[66:69], v116 offset:11664
	global_wb scope:SCOPE_SE
	s_wait_storecnt_dscnt 0x0
	s_barrier_signal -1
	s_barrier_wait -1
	global_inv scope:SCOPE_SE
	v_add_f64_e32 v[159:160], v[22:23], v[117:118]
	v_add_f64_e32 v[165:166], v[40:41], v[42:43]
	;; [unrolled: 1-line block ×6, first 2 shown]
	v_add_f64_e64 v[70:71], v[70:71], -v[133:134]
	v_add_f64_e64 v[117:118], v[117:118], -v[119:120]
	;; [unrolled: 1-line block ×3, first 2 shown]
	v_fma_f64 v[32:33], v[169:170], v[56:57], -v[98:99]
	v_fma_f64 v[56:57], v[171:172], v[56:57], v[214:215]
	v_add_f64_e32 v[98:99], v[92:93], v[96:97]
	v_fma_f64 v[54:55], v[181:182], v[48:49], -v[111:112]
	v_fma_f64 v[48:49], v[183:184], v[48:49], v[50:51]
	v_fma_f64 v[50:51], v[189:190], v[44:45], -v[218:219]
	v_fma_f64 v[44:45], v[191:192], v[44:45], v[46:47]
	;; [unrolled: 2-line block ×4, first 2 shown]
	v_add_f64_e32 v[78:79], v[82:83], v[88:89]
	v_add_f64_e32 v[145:146], v[100:101], v[113:114]
	;; [unrolled: 1-line block ×6, first 2 shown]
	v_add_f64_e64 v[169:170], v[42:43], -v[30:31]
	v_add_f64_e32 v[42:43], v[125:126], v[127:128]
	v_add_f64_e32 v[171:172], v[135:136], v[137:138]
	;; [unrolled: 1-line block ×3, first 2 shown]
	v_add_f64_e64 v[185:186], v[12:13], -v[143:144]
	v_add_f64_e32 v[12:13], v[8:9], v[36:37]
	v_add_f64_e32 v[187:188], v[10:11], v[34:35]
	;; [unrolled: 1-line block ×3, first 2 shown]
	v_add_f64_e64 v[92:93], v[92:93], -v[96:97]
	v_add_f64_e64 v[82:83], v[82:83], -v[88:89]
	v_add_f64_e32 v[149:150], v[6:7], v[109:110]
	v_add_f64_e64 v[109:110], v[109:110], -v[129:130]
	v_add_f64_e64 v[100:101], v[100:101], -v[113:114]
	v_add_f64_e32 v[191:192], v[14:15], v[8:9]
	;; [unrolled: 3-line block ×4, first 2 shown]
	v_fma_f64 v[119:120], v[177:178], -0.5, v[58:59]
	v_add_f64_e32 v[197:198], v[32:33], v[94:95]
	v_add_f64_e32 v[199:200], v[56:57], v[52:53]
	;; [unrolled: 1-line block ×3, first 2 shown]
	v_add_f64_e64 v[210:211], v[56:57], -v[52:53]
	v_add_f64_e32 v[216:217], v[20:21], v[48:49]
	v_add_f64_e32 v[56:57], v[54:55], v[50:51]
	;; [unrolled: 1-line block ×4, first 2 shown]
	v_add_f64_e64 v[228:229], v[48:49], -v[44:45]
	v_add_f64_e32 v[220:221], v[46:47], v[74:75]
	v_add_f64_e32 v[222:223], v[72:73], v[76:77]
	v_add_f64_e64 v[234:235], v[46:47], -v[74:75]
	v_fma_f64 v[46:47], v[78:79], -0.5, v[0:1]
	v_fma_f64 v[48:49], v[98:99], -0.5, v[2:3]
	v_add_f64_e32 v[218:219], v[18:19], v[54:55]
	v_add_f64_e32 v[224:225], v[68:69], v[72:73]
	v_add_f64_e64 v[230:231], v[54:55], -v[50:51]
	v_add_f64_e64 v[232:233], v[72:73], -v[76:77]
	v_fma_f64 v[54:55], v[145:146], -0.5, v[4:5]
	v_fma_f64 v[72:73], v[147:148], -0.5, v[6:7]
	v_add_f64_e32 v[0:1], v[131:132], v[88:89]
	v_fma_f64 v[78:79], v[153:154], -0.5, v[22:23]
	v_fma_f64 v[88:89], v[155:156], -0.5, v[24:25]
	v_add_f64_e32 v[2:3], v[111:112], v[96:97]
	;; [unrolled: 3-line block ×4, first 2 shown]
	v_add_f64_e32 v[22:23], v[167:168], v[123:124]
	v_fma_f64 v[123:124], v[179:180], -0.5, v[60:61]
	v_add_f64_e64 v[193:194], v[10:11], -v[34:35]
	v_add_f64_e32 v[28:29], v[173:174], v[137:138]
	v_add_f64_e32 v[26:27], v[175:176], v[127:128]
	v_fma_f64 v[127:128], v[12:13], -0.5, v[14:15]
	v_fma_f64 v[137:138], v[187:188], -0.5, v[16:17]
	v_add_f64_e64 v[212:213], v[32:33], -v[94:95]
	v_add_f64_e32 v[24:25], v[165:166], v[30:31]
	v_add_f64_e32 v[32:33], v[181:182], v[143:144]
	;; [unrolled: 1-line block ×3, first 2 shown]
	v_fma_f64 v[141:142], v[197:198], -0.5, v[62:63]
	v_fma_f64 v[143:144], v[199:200], -0.5, v[64:65]
	;; [unrolled: 1-line block ×4, first 2 shown]
	v_add_f64_e32 v[18:19], v[216:217], v[44:45]
	v_add_f64_e32 v[6:7], v[149:150], v[129:130]
	v_fma_f64 v[155:156], v[220:221], -0.5, v[66:67]
	v_fma_f64 v[159:160], v[222:223], -0.5, v[68:69]
	v_add_f64_e32 v[12:13], v[191:192], v[36:37]
	v_fma_f64 v[42:43], v[92:93], s[2:3], v[46:47]
	v_fma_f64 v[44:45], v[82:83], s[6:7], v[48:49]
	;; [unrolled: 1-line block ×4, first 2 shown]
	v_add_f64_e32 v[36:37], v[206:207], v[52:53]
	v_add_f64_e32 v[16:17], v[218:219], v[50:51]
	v_fma_f64 v[50:51], v[109:110], s[2:3], v[54:55]
	v_fma_f64 v[52:53], v[100:101], s[6:7], v[72:73]
	;; [unrolled: 1-line block ×4, first 2 shown]
	v_add_f64_e32 v[10:11], v[157:158], v[133:134]
	v_fma_f64 v[58:59], v[70:71], s[2:3], v[78:79]
	v_fma_f64 v[60:61], v[117:118], s[6:7], v[88:89]
	;; [unrolled: 1-line block ×8, first 2 shown]
	v_add_f64_e32 v[40:41], v[224:225], v[76:77]
	v_add_f64_e32 v[38:39], v[226:227], v[74:75]
	v_fma_f64 v[74:75], v[135:136], s[2:3], v[111:112]
	v_fma_f64 v[76:77], v[125:126], s[6:7], v[113:114]
	v_add_f64_e32 v[14:15], v[189:190], v[34:35]
	v_add_f64_e32 v[34:35], v[208:209], v[94:95]
	v_fma_f64 v[92:93], v[135:136], s[6:7], v[111:112]
	v_fma_f64 v[94:95], v[125:126], s[2:3], v[113:114]
	;; [unrolled: 1-line block ×22, first 2 shown]
	v_add3_u32 v20, 0, v202, v237
	v_add3_u32 v21, 0, v203, v115
	;; [unrolled: 1-line block ×4, first 2 shown]
	ds_store_b128 v236, v[0:3]
	ds_store_b128 v236, v[42:45] offset:480
	ds_store_b128 v236, v[46:49] offset:960
	ds_store_b128 v240, v[4:7]
	ds_store_b128 v240, v[50:53] offset:480
	ds_store_b128 v240, v[54:57] offset:960
	ds_store_b128 v241, v[8:11]
	ds_store_b128 v241, v[58:61] offset:480
	ds_store_b128 v241, v[62:65] offset:960
	ds_store_b128 v242, v[22:25]
	ds_store_b128 v242, v[66:69] offset:480
	ds_store_b128 v242, v[70:73] offset:960
	ds_store_b128 v90, v[26:29]
	ds_store_b128 v90, v[74:77] offset:480
	ds_store_b128 v90, v[92:95] offset:960
	ds_store_b128 v243, v[30:33]
	ds_store_b128 v243, v[96:99] offset:480
	ds_store_b128 v243, v[109:112] offset:960
	ds_store_b128 v20, v[12:15]
	ds_store_b128 v20, v[129:132] offset:480
	ds_store_b128 v20, v[133:136] offset:960
	ds_store_b128 v21, v[34:37]
	ds_store_b128 v21, v[137:140] offset:480
	ds_store_b128 v21, v[141:144] offset:960
	ds_store_b128 v78, v[16:19]
	ds_store_b128 v78, v[145:148] offset:480
	ds_store_b128 v78, v[149:152] offset:960
	ds_store_b128 v79, v[38:41]
	ds_store_b128 v79, v[153:156] offset:480
	ds_store_b128 v79, v[157:160] offset:960
	v_mul_lo_u16 v2, 0x5a, v102
	v_mul_lo_u16 v3, 0x5a, v103
	v_mov_b32_e32 v92, v252
	v_mul_lo_u16 v12, 0x5a, v104
	v_lshrrev_b32_e32 v16, 20, v201
	v_sub_nc_u16 v2, v251, v2
	v_add_co_u32 v0, s0, s4, v80
	s_wait_alu 0xf1ff
	v_add_co_ci_u32_e64 v1, s0, s5, v81, s0
	s_delay_alu instid0(VALU_DEP_3)
	v_and_b32_e32 v100, 0xff, v2
	v_sub_nc_u16 v2, v92, v3
	v_mul_lo_u16 v13, 0x5a, v105
	v_mul_lo_u16 v14, 0x5a, v106
	;; [unrolled: 1-line block ×3, first 2 shown]
	v_sub_nc_u16 v12, v245, v12
	v_and_b32_e32 v101, 0xffff, v2
	v_mul_lo_u16 v36, 0x5a, v108
	v_mul_lo_u16 v52, 0x5a, v16
	global_wb scope:SCOPE_SE
	s_wait_dscnt 0x0
	s_barrier_signal -1
	v_lshlrev_b32_e32 v2, 5, v101
	s_barrier_wait -1
	global_inv scope:SCOPE_SE
	s_clause 0x3
	global_load_b128 v[4:7], v[86:87], off offset:1280
	global_load_b128 v[20:23], v[0:1], off offset:1296
	;; [unrolled: 1-line block ×3, first 2 shown]
	global_load_b128 v[28:31], v2, s[4:5] offset:1296
	v_sub_nc_u16 v1, v244, v13
	v_and_b32_e32 v109, 0xffff, v12
	v_sub_nc_u16 v12, v246, v14
	v_sub_nc_u16 v38, v254, v3
	;; [unrolled: 1-line block ×4, first 2 shown]
	v_lshlrev_b32_e32 v0, 5, v100
	v_and_b32_e32 v110, 0xffff, v1
	v_and_b32_e32 v111, 0xffff, v12
	v_and_b32_e32 v112, 0xffff, v38
	v_and_b32_e32 v113, 0xffff, v54
	v_and_b32_e32 v114, 0xffff, v61
	s_clause 0x1
	global_load_b128 v[48:51], v0, s[4:5] offset:1280
	global_load_b128 v[44:47], v0, s[4:5] offset:1296
	v_lshlrev_b32_e32 v0, 5, v109
	v_lshlrev_b32_e32 v37, 5, v110
	;; [unrolled: 1-line block ×6, first 2 shown]
	s_clause 0xd
	global_load_b128 v[8:11], v[86:87], off offset:1296
	global_load_b128 v[32:35], v2, s[4:5] offset:1280
	global_load_b128 v[12:15], v0, s[4:5] offset:1280
	;; [unrolled: 1-line block ×13, first 2 shown]
	scratch_load_b64 v[80:81], off, off     ; 8-byte Folded Reload
	v_dual_mov_b32 v83, v85 :: v_dual_lshlrev_b32 v82, 1, v251
	v_lshlrev_b32_e32 v97, 4, v91
	ds_load_b128 v[124:127], v116 offset:12960
	v_mul_u32_u24_e32 v243, 0x10e0, v105
	v_mul_u32_u24_e32 v244, 0x10e0, v106
	;; [unrolled: 1-line block ×5, first 2 shown]
	v_dual_mov_b32 v254, v252 :: v_dual_lshlrev_b32 v247, 4, v110
	v_mov_b32_e32 v255, v253
	v_lshl_add_u32 v114, v114, 4, 0
	s_delay_alu instid0(VALU_DEP_4)
	v_lshrrev_b32_e32 v242, 23, v117
	v_mov_b32_e32 v93, v85
	scratch_load_b64 v[89:90], off, off     ; 8-byte Folded Reload
	s_wait_loadcnt 0x0
	v_lshlrev_b64_e32 v[90:91], 4, v[82:83]
	v_mul_u32_u24_e32 v82, 0x795d, v250
	v_mul_u32_u24_e32 v83, 0x795d, v249
	v_lshlrev_b32_e32 v249, 4, v112
	v_lshlrev_b32_e32 v250, 4, v113
	s_delay_alu instid0(VALU_DEP_4)
	v_lshrrev_b32_e32 v99, 23, v82
	v_mul_u32_u24_e32 v82, 0x10e0, v104
	v_lshrrev_b32_e32 v115, 23, v83
	v_lshlrev_b32_e32 v83, 4, v100
	v_lshlrev_b32_e32 v100, 4, v101
	;; [unrolled: 1-line block ×3, first 2 shown]
	ds_load_b128 v[106:109], v116 offset:14256
	v_add3_u32 v253, 0, v82, v101
	v_subrev_nc_u32_e32 v88, 27, v80
	scratch_load_b64 v[80:81], off, off     ; 8-byte Folded Reload
	s_wait_loadcnt 0x0
	v_mov_b32_e32 v81, v85
	v_cmp_lt_u32_e64 s0, 8, v80
	scratch_load_b32 v80, off, off offset:16 th:TH_LOAD_LU ; 4-byte Folded Reload
	s_wait_alu 0xf1ff
	v_cndmask_b32_e64 v96, 0, 0x10e0, s0
	v_cmp_gt_u32_e64 s0, 27, v89
	v_mov_b32_e32 v89, v85
	s_delay_alu instid0(VALU_DEP_3) | instskip(SKIP_1) | instid1(VALU_DEP_3)
	v_add3_u32 v123, 0, v96, v97
	s_wait_alu 0xf1ff
	v_cndmask_b32_e64 v98, v88, v92, s0
	v_add_nc_u32_e32 v92, 0x6c, v84
	v_add_nc_u32_e32 v84, 0x10e, v84
	s_delay_alu instid0(VALU_DEP_3) | instskip(NEXT) | instid1(VALU_DEP_3)
	v_lshlrev_b32_e32 v88, 1, v98
	v_lshlrev_b64_e32 v[92:93], 4, v[92:93]
	s_delay_alu instid0(VALU_DEP_3)
	v_lshlrev_b64_e32 v[94:95], 4, v[84:85]
	v_mul_u32_u24_e32 v84, 0x795d, v248
	v_lshlrev_b32_e32 v248, 4, v111
	v_lshlrev_b64_e32 v[96:97], 4, v[88:89]
	ds_load_b128 v[110:113], v116 offset:27216
	v_lshrrev_b32_e32 v84, 23, v84
	s_wait_dscnt 0x0
	v_mul_f64_e32 v[117:118], v[112:113], v[22:23]
	v_mul_f64_e32 v[22:23], v[110:111], v[22:23]
	s_delay_alu instid0(VALU_DEP_2) | instskip(NEXT) | instid1(VALU_DEP_2)
	v_fma_f64 v[110:111], v[110:111], v[20:21], -v[117:118]
	v_fma_f64 v[112:113], v[112:113], v[20:21], v[22:23]
	s_wait_loadcnt 0x0
	v_lshlrev_b32_e32 v80, 1, v80
	s_delay_alu instid0(VALU_DEP_1) | instskip(NEXT) | instid1(VALU_DEP_1)
	v_lshlrev_b64_e32 v[80:81], 4, v[80:81]
	v_add_co_u32 v88, s0, s4, v80
	s_wait_alu 0xf1ff
	s_delay_alu instid0(VALU_DEP_2)
	v_add_co_ci_u32_e64 v89, s0, s5, v81, s0
	v_and_b32_e32 v80, 0xffff, v102
	v_mul_u32_u24_e32 v81, 0x10e0, v103
	ds_load_b128 v[102:105], v116 offset:25920
	ds_load_b128 v[128:131], v116 offset:15552
	;; [unrolled: 1-line block ×9, first 2 shown]
	v_mul_u32_u24_e32 v80, 0x10e0, v80
	v_add3_u32 v252, 0, v81, v100
	v_mul_f64_e32 v[100:101], v[108:109], v[26:27]
	v_mul_f64_e32 v[26:27], v[106:107], v[26:27]
	ds_load_b128 v[160:163], v116 offset:20736
	ds_load_b128 v[164:167], v116 offset:22032
	;; [unrolled: 1-line block ×4, first 2 shown]
	v_add3_u32 v251, 0, v80, v83
	v_mul_f64_e32 v[80:81], v[126:127], v[6:7]
	v_mul_f64_e32 v[6:7], v[124:125], v[6:7]
	ds_load_b128 v[176:179], v116 offset:23328
	ds_load_b128 v[180:183], v116 offset:24624
	;; [unrolled: 1-line block ×4, first 2 shown]
	ds_load_b128 v[192:195], v116
	ds_load_b128 v[196:199], v116 offset:1296
	v_add_co_u32 v90, s0, s4, v90
	s_wait_alu 0xf1ff
	v_add_co_ci_u32_e64 v91, s0, s5, v91, s0
	s_wait_dscnt 0x11
	v_mul_f64_e32 v[119:120], v[130:131], v[50:51]
	v_mul_f64_e32 v[50:51], v[128:129], v[50:51]
	;; [unrolled: 1-line block ×4, first 2 shown]
	s_wait_dscnt 0xf
	v_mul_f64_e32 v[121:122], v[138:139], v[46:47]
	v_mul_f64_e32 v[46:47], v[136:137], v[46:47]
	;; [unrolled: 1-line block ×4, first 2 shown]
	s_wait_dscnt 0xe
	v_mul_f64_e32 v[202:203], v[142:143], v[30:31]
	v_mul_f64_e32 v[30:31], v[140:141], v[30:31]
	s_wait_dscnt 0xd
	v_mul_f64_e32 v[204:205], v[146:147], v[14:15]
	v_mul_f64_e32 v[14:15], v[144:145], v[14:15]
	;; [unrolled: 3-line block ×3, first 2 shown]
	v_mul_f64_e32 v[210:211], v[150:151], v[18:19]
	s_wait_dscnt 0xa
	v_mul_f64_e32 v[212:213], v[158:159], v[38:39]
	v_mul_f64_e32 v[38:39], v[156:157], v[38:39]
	s_wait_dscnt 0x9
	v_mul_f64_e32 v[214:215], v[162:163], v[42:43]
	s_wait_dscnt 0x7
	v_mul_f64_e32 v[216:217], v[170:171], v[54:55]
	v_mul_f64_e32 v[54:55], v[168:169], v[54:55]
	;; [unrolled: 1-line block ×4, first 2 shown]
	s_wait_dscnt 0x5
	v_mul_f64_e32 v[220:221], v[178:179], v[66:67]
	v_mul_f64_e32 v[66:67], v[176:177], v[66:67]
	s_wait_dscnt 0x3
	v_mul_f64_e32 v[117:118], v[186:187], v[62:63]
	v_fma_f64 v[100:101], v[106:107], v[24:25], -v[100:101]
	v_fma_f64 v[106:107], v[108:109], v[24:25], v[26:27]
	v_mul_f64_e32 v[108:109], v[174:175], v[70:71]
	v_mul_f64_e32 v[70:71], v[172:173], v[70:71]
	v_fma_f64 v[80:81], v[124:125], v[4:5], -v[80:81]
	v_fma_f64 v[124:125], v[126:127], v[4:5], v[6:7]
	v_mul_f64_e32 v[126:127], v[148:149], v[18:19]
	v_mul_f64_e32 v[62:63], v[184:185], v[62:63]
	;; [unrolled: 1-line block ×3, first 2 shown]
	v_fma_f64 v[119:120], v[128:129], v[48:49], -v[119:120]
	v_fma_f64 v[48:49], v[130:131], v[48:49], v[50:51]
	v_fma_f64 v[82:83], v[102:103], v[8:9], -v[82:83]
	v_fma_f64 v[102:103], v[104:105], v[8:9], v[10:11]
	v_mul_f64_e32 v[104:105], v[160:161], v[42:43]
	v_mul_f64_e32 v[50:51], v[180:181], v[74:75]
	s_wait_dscnt 0x2
	v_mul_f64_e32 v[74:75], v[190:191], v[78:79]
	v_mul_f64_e32 v[78:79], v[188:189], v[78:79]
	v_fma_f64 v[121:122], v[136:137], v[44:45], -v[121:122]
	v_fma_f64 v[46:47], v[138:139], v[44:45], v[46:47]
	v_fma_f64 v[128:129], v[132:133], v[32:33], -v[200:201]
	v_fma_f64 v[34:35], v[134:135], v[32:33], v[34:35]
	;; [unrolled: 2-line block ×6, first 2 shown]
	ds_load_b128 v[2:5], v116 offset:2592
	ds_load_b128 v[6:9], v116 offset:3888
	;; [unrolled: 1-line block ×8, first 2 shown]
	v_add_f64_e32 v[140:141], v[100:101], v[110:111]
	v_add_f64_e32 v[142:143], v[106:107], v[112:113]
	s_wait_dscnt 0x8
	v_add_f64_e32 v[146:147], v[196:197], v[100:101]
	v_add_f64_e32 v[144:145], v[198:199], v[106:107]
	v_add_f64_e64 v[106:107], v[106:107], -v[112:113]
	v_add_f64_e64 v[100:101], v[100:101], -v[110:111]
	v_fma_f64 v[16:17], v[150:151], v[16:17], v[126:127]
	v_fma_f64 v[126:127], v[156:157], v[36:37], -v[212:213]
	v_fma_f64 v[36:37], v[160:161], v[40:41], -v[214:215]
	s_wait_dscnt 0x7
	v_add_f64_e32 v[152:153], v[4:5], v[48:49]
	v_add_f64_e32 v[154:155], v[2:3], v[119:120]
	v_fma_f64 v[40:41], v[162:163], v[40:41], v[104:105]
	v_fma_f64 v[104:105], v[168:169], v[52:53], -v[216:217]
	v_fma_f64 v[52:53], v[170:171], v[52:53], v[54:55]
	v_fma_f64 v[54:55], v[164:165], v[56:57], -v[218:219]
	;; [unrolled: 2-line block ×7, first 2 shown]
	v_fma_f64 v[74:75], v[190:191], v[76:77], v[78:79]
	v_add_f64_e32 v[76:77], v[80:81], v[82:83]
	v_add_f64_e32 v[78:79], v[124:125], v[102:103]
	;; [unrolled: 1-line block ×4, first 2 shown]
	v_add_f64_e64 v[156:157], v[48:49], -v[46:47]
	v_add_f64_e32 v[48:49], v[128:129], v[130:131]
	v_add_f64_e32 v[158:159], v[34:35], v[132:133]
	;; [unrolled: 1-line block ×6, first 2 shown]
	s_wait_dscnt 0x5
	v_add_f64_e32 v[170:171], v[20:21], v[14:15]
	v_add_f64_e32 v[178:179], v[16:17], v[38:39]
	;; [unrolled: 1-line block ×3, first 2 shown]
	v_add_f64_e64 v[124:125], v[124:125], -v[102:103]
	v_add_f64_e64 v[80:81], v[80:81], -v[82:83]
	;; [unrolled: 1-line block ×3, first 2 shown]
	v_add_f64_e32 v[160:161], v[8:9], v[34:35]
	v_add_f64_e32 v[162:163], v[6:7], v[128:129]
	v_add_f64_e64 v[164:165], v[34:35], -v[132:133]
	v_add_f64_e64 v[128:129], v[128:129], -v[130:131]
	s_wait_dscnt 0x4
	v_add_f64_e32 v[180:181], v[24:25], v[16:17]
	v_add_f64_e32 v[172:173], v[18:19], v[134:135]
	s_wait_dscnt 0x3
	v_add_f64_e32 v[200:201], v[28:29], v[40:41]
	v_add_f64_e32 v[188:189], v[36:37], v[104:105]
	;; [unrolled: 1-line block ×3, first 2 shown]
	v_add_f64_e64 v[204:205], v[40:41], -v[52:53]
	s_wait_dscnt 0x2
	v_add_f64_e32 v[212:213], v[30:31], v[54:55]
	v_add_f64_e32 v[40:41], v[54:55], v[58:59]
	;; [unrolled: 1-line block ×3, first 2 shown]
	v_add_f64_e64 v[232:233], v[54:55], -v[58:59]
	v_add_f64_e32 v[210:211], v[32:33], v[56:57]
	v_add_f64_e32 v[214:215], v[70:71], v[66:67]
	;; [unrolled: 1-line block ×3, first 2 shown]
	s_wait_dscnt 0x0
	v_add_f64_e32 v[228:229], v[42:43], v[62:63]
	v_add_f64_e32 v[226:227], v[44:45], v[50:51]
	;; [unrolled: 1-line block ×4, first 2 shown]
	v_add_f64_e64 v[238:239], v[50:51], -v[74:75]
	v_fma_f64 v[50:51], v[76:77], -0.5, v[192:193]
	v_fma_f64 v[54:55], v[78:79], -0.5, v[194:195]
	v_add_f64_e64 v[230:231], v[56:57], -v[68:69]
	v_add_f64_e64 v[240:241], v[62:63], -v[72:73]
	v_fma_f64 v[56:57], v[140:141], -0.5, v[196:197]
	v_fma_f64 v[62:63], v[142:143], -0.5, v[198:199]
	v_add_f64_e32 v[218:219], v[12:13], v[64:65]
	v_add_f64_e32 v[220:221], v[10:11], v[70:71]
	v_add_f64_e64 v[234:235], v[64:65], -v[60:61]
	v_add_f64_e64 v[236:237], v[70:71], -v[66:67]
	v_fma_f64 v[64:65], v[148:149], -0.5, v[2:3]
	v_fma_f64 v[70:71], v[150:151], -0.5, v[4:5]
	;; [unrolled: 1-line block ×4, first 2 shown]
	v_add_f64_e64 v[174:175], v[14:15], -v[138:139]
	v_add_f64_e64 v[134:135], v[134:135], -v[136:137]
	;; [unrolled: 1-line block ×3, first 2 shown]
	v_add_f64_e32 v[16:17], v[108:109], v[102:103]
	v_add_f64_e32 v[14:15], v[117:118], v[82:83]
	v_fma_f64 v[82:83], v[166:167], -0.5, v[18:19]
	v_fma_f64 v[102:103], v[168:169], -0.5, v[20:21]
	v_add_f64_e32 v[182:183], v[22:23], v[0:1]
	v_add_f64_e64 v[186:187], v[0:1], -v[126:127]
	v_add_f64_e32 v[202:203], v[26:27], v[36:37]
	v_add_f64_e32 v[34:35], v[146:147], v[110:111]
	v_fma_f64 v[108:109], v[176:177], -0.5, v[22:23]
	v_fma_f64 v[110:111], v[178:179], -0.5, v[24:25]
	v_add_f64_e64 v[206:207], v[36:37], -v[104:105]
	v_add_f64_e32 v[36:37], v[144:145], v[112:113]
	v_fma_f64 v[112:113], v[188:189], -0.5, v[26:27]
	v_fma_f64 v[117:118], v[190:191], -0.5, v[28:29]
	v_add_f64_e32 v[0:1], v[154:155], v[121:122]
	v_add_f64_e32 v[20:21], v[170:171], v[138:139]
	v_fma_f64 v[121:122], v[40:41], -0.5, v[30:31]
	v_fma_f64 v[138:139], v[208:209], -0.5, v[32:33]
	;; [unrolled: 1-line block ×6, first 2 shown]
	v_fma_f64 v[42:43], v[124:125], s[2:3], v[50:51]
	v_fma_f64 v[44:45], v[80:81], s[6:7], v[54:55]
	v_add_f64_e32 v[2:3], v[152:153], v[46:47]
	v_fma_f64 v[46:47], v[124:125], s[6:7], v[50:51]
	v_fma_f64 v[48:49], v[80:81], s[2:3], v[54:55]
	v_add_f64_e32 v[28:29], v[200:201], v[52:53]
	v_fma_f64 v[50:51], v[106:107], s[2:3], v[56:57]
	v_fma_f64 v[52:53], v[100:101], s[6:7], v[62:63]
	;; [unrolled: 1-line block ×4, first 2 shown]
	v_add_f64_e32 v[30:31], v[212:213], v[58:59]
	v_add_f64_e32 v[10:11], v[218:219], v[60:61]
	v_fma_f64 v[58:59], v[156:157], s[2:3], v[64:65]
	v_fma_f64 v[60:61], v[119:120], s[6:7], v[70:71]
	;; [unrolled: 1-line block ×4, first 2 shown]
	v_add_f64_e32 v[6:7], v[160:161], v[132:133]
	v_add_f64_e32 v[4:5], v[162:163], v[130:131]
	;; [unrolled: 1-line block ×4, first 2 shown]
	v_fma_f64 v[66:67], v[164:165], s[2:3], v[76:77]
	v_fma_f64 v[68:69], v[128:129], s[6:7], v[78:79]
	v_add_f64_e32 v[24:25], v[180:181], v[38:39]
	v_add_f64_e32 v[38:39], v[228:229], v[72:73]
	v_fma_f64 v[70:71], v[164:165], s[6:7], v[76:77]
	v_fma_f64 v[72:73], v[128:129], s[2:3], v[78:79]
	v_add_f64_e32 v[18:19], v[172:173], v[136:137]
	v_add_f64_e32 v[40:41], v[226:227], v[74:75]
	v_fma_f64 v[74:75], v[174:175], s[2:3], v[82:83]
	v_fma_f64 v[76:77], v[134:135], s[6:7], v[102:103]
	;; [unrolled: 1-line block ×4, first 2 shown]
	v_add_f64_e32 v[22:23], v[182:183], v[126:127]
	v_add_f64_e32 v[26:27], v[202:203], v[104:105]
	v_fma_f64 v[104:105], v[184:185], s[2:3], v[108:109]
	v_fma_f64 v[106:107], v[186:187], s[6:7], v[110:111]
	;; [unrolled: 1-line block ×20, first 2 shown]
	v_add3_u32 v12, 0, v243, v247
	v_add3_u32 v13, 0, v244, v248
	scratch_load_b64 v[243:244], off, off   ; 8-byte Folded Reload
	v_add3_u32 v78, 0, v245, v249
	v_add3_u32 v79, 0, v246, v250
	global_wb scope:SCOPE_SE
	s_wait_loadcnt 0x0
	s_barrier_signal -1
	s_barrier_wait -1
	global_inv scope:SCOPE_SE
	ds_store_b128 v116, v[14:17]
	ds_store_b128 v116, v[42:45] offset:1440
	ds_store_b128 v116, v[46:49] offset:2880
	ds_store_b128 v123, v[34:37]
	ds_store_b128 v123, v[50:53] offset:1440
	ds_store_b128 v123, v[54:57] offset:2880
	;; [unrolled: 3-line block ×9, first 2 shown]
	ds_store_b128 v114, v[38:41] offset:34560
	ds_store_b128 v114, v[148:151] offset:36000
	;; [unrolled: 1-line block ×3, first 2 shown]
	global_wb scope:SCOPE_SE
	s_wait_dscnt 0x0
	s_barrier_signal -1
	s_barrier_wait -1
	global_inv scope:SCOPE_SE
	s_clause 0x4
	global_load_b128 v[4:7], v[86:87], off offset:4160
	global_load_b128 v[8:11], v[86:87], off offset:4176
	;; [unrolled: 1-line block ×5, first 2 shown]
	scratch_load_b32 v104, off, off offset:32 th:TH_LOAD_LU ; 4-byte Folded Reload
	v_add_co_u32 v20, s0, s4, v92
	s_wait_alu 0xf1ff
	v_add_co_ci_u32_e64 v21, s0, s5, v93, s0
	v_add_co_u32 v28, s0, s4, v94
	s_wait_alu 0xf1ff
	v_add_co_ci_u32_e64 v29, s0, s5, v95, s0
	v_add_co_u32 v16, s0, s4, v96
	v_mul_lo_u16 v12, 0x10e, v99
	s_wait_alu 0xf1ff
	v_add_co_ci_u32_e64 v17, s0, s5, v97, s0
	v_mul_lo_u16 v18, 0x10e, v115
	v_mul_lo_u16 v22, 0x10e, v84
	;; [unrolled: 1-line block ×3, first 2 shown]
	v_lshlrev_b32_e32 v84, 1, v254
	v_lshlrev_b32_e32 v83, 4, v98
	v_mul_u32_u24_e32 v99, 0x32a0, v99
	s_delay_alu instid0(VALU_DEP_4) | instskip(NEXT) | instid1(VALU_DEP_4)
	v_sub_nc_u16 v36, v255, v36
	v_lshlrev_b64_e32 v[80:81], 4, v[84:85]
	s_delay_alu instid0(VALU_DEP_2) | instskip(NEXT) | instid1(VALU_DEP_1)
	v_and_b32_e32 v96, 0xffff, v36
	v_lshlrev_b32_e32 v76, 5, v96
	v_lshl_add_u32 v96, v96, 4, 0
	v_cmp_lt_u32_e64 s0, 26, v243
	s_wait_alu 0xf1ff
	s_delay_alu instid0(VALU_DEP_1) | instskip(SKIP_3) | instid1(VALU_DEP_3)
	v_cndmask_b32_e64 v82, 0, 0x32a0, s0
	v_add_co_u32 v92, s0, s4, v80
	s_wait_alu 0xf1ff
	v_add_co_ci_u32_e64 v93, s0, s5, v81, s0
	v_add3_u32 v98, 0, v82, v83
	s_wait_loadcnt 0x0
	v_sub_nc_u16 v23, v104, v12
	s_clause 0x1
	global_load_b128 v[12:15], v[90:91], off offset:4176
	global_load_b128 v[64:67], v[16:17], off offset:4160
	scratch_load_b32 v245, off, off offset:72 th:TH_LOAD_LU ; 4-byte Folded Reload
	v_and_b32_e32 v97, 0xffff, v23
	s_delay_alu instid0(VALU_DEP_1)
	v_lshlrev_b32_e32 v38, 5, v97
	s_wait_loadcnt 0x0
	v_sub_nc_u16 v30, v245, v18
	s_clause 0x1
	global_load_b128 v[16:19], v[16:17], off offset:4176
	global_load_b128 v[24:27], v[20:21], off offset:4160
	scratch_load_b32 v244, off, off offset:36 th:TH_LOAD_LU ; 4-byte Folded Reload
	s_clause 0x1
	global_load_b128 v[32:35], v[28:29], off offset:4160
	global_load_b128 v[52:55], v38, s[4:5] offset:4160
	v_and_b32_e32 v94, 0xffff, v30
	s_clause 0x1
	global_load_b128 v[28:31], v[28:29], off offset:4176
	global_load_b128 v[48:51], v38, s[4:5] offset:4176
	s_wait_loadcnt 0x4
	v_sub_nc_u16 v37, v244, v22
	global_load_b128 v[20:23], v[20:21], off offset:4176
	v_and_b32_e32 v95, 0xffff, v37
	v_lshlrev_b32_e32 v37, 5, v94
	v_lshl_add_u32 v94, v94, 4, 0
	s_delay_alu instid0(VALU_DEP_3)
	v_lshlrev_b32_e32 v36, 5, v95
	s_clause 0x5
	global_load_b128 v[60:63], v37, s[4:5] offset:4160
	global_load_b128 v[56:59], v37, s[4:5] offset:4176
	;; [unrolled: 1-line block ×6, first 2 shown]
	scratch_load_b32 v84, off, off offset:8 th:TH_LOAD_LU ; 4-byte Folded Reload
	ds_load_b128 v[100:103], v116 offset:12960
	v_lshl_add_u32 v95, v95, 4, 0
	s_wait_loadcnt 0x0
	v_lshlrev_b32_e32 v84, 1, v84
	s_delay_alu instid0(VALU_DEP_1)
	v_lshlrev_b64_e32 v[82:83], 4, v[84:85]
	scratch_load_b32 v84, off, off offset:12 th:TH_LOAD_LU ; 4-byte Folded Reload
	v_add_co_u32 v82, s0, s4, v82
	s_wait_alu 0xf1ff
	v_add_co_ci_u32_e64 v83, s0, s5, v83, s0
	s_wait_loadcnt 0x0
	v_lshlrev_b32_e32 v84, 1, v84
	s_delay_alu instid0(VALU_DEP_1)
	v_lshlrev_b64_e32 v[80:81], 4, v[84:85]
	v_lshlrev_b32_e32 v84, 1, v104
	ds_load_b128 v[104:107], v116 offset:25920
	ds_load_b128 v[108:111], v116 offset:14256
	;; [unrolled: 1-line block ×9, first 2 shown]
	s_wait_dscnt 0x9
	v_mul_f64_e32 v[199:200], v[102:103], v[6:7]
	ds_load_b128 v[143:146], v116 offset:31104
	ds_load_b128 v[147:150], v116 offset:32400
	;; [unrolled: 1-line block ×4, first 2 shown]
	v_mul_f64_e32 v[6:7], v[100:101], v[6:7]
	ds_load_b128 v[159:162], v116 offset:33696
	ds_load_b128 v[163:166], v116 offset:34992
	;; [unrolled: 1-line block ×6, first 2 shown]
	ds_load_b128 v[183:186], v116
	ds_load_b128 v[187:190], v116 offset:1296
	ds_load_b128 v[191:194], v116 offset:2592
	ds_load_b128 v[195:198], v116 offset:3888
	v_lshlrev_b64_e32 v[117:118], 4, v[84:85]
	v_lshlrev_b32_e32 v84, 4, v97
	s_wait_dscnt 0x15
	v_mul_f64_e32 v[203:204], v[110:111], v[2:3]
	s_wait_dscnt 0x14
	v_mul_f64_e32 v[205:206], v[114:115], v[70:71]
	v_mul_f64_e32 v[70:71], v[112:113], v[70:71]
	v_mul_f64_e32 v[2:3], v[108:109], v[2:3]
	s_wait_dscnt 0x13
	v_mul_f64_e32 v[207:208], v[121:122], v[46:47]
	v_mul_f64_e32 v[46:47], v[119:120], v[46:47]
	v_mul_f64_e32 v[201:202], v[106:107], v[10:11]
	v_mul_f64_e32 v[10:11], v[104:105], v[10:11]
	s_wait_dscnt 0x11
	v_mul_f64_e32 v[209:210], v[129:130], v[14:15]
	;; [unrolled: 5-line block ×3, first 2 shown]
	v_mul_f64_e32 v[18:19], v[131:132], v[18:19]
	s_wait_dscnt 0xf
	v_mul_f64_e32 v[215:216], v[137:138], v[26:27]
	v_mul_f64_e32 v[26:27], v[135:136], v[26:27]
	s_wait_dscnt 0xd
	v_mul_f64_e32 v[217:218], v[145:146], v[22:23]
	v_mul_f64_e32 v[22:23], v[143:144], v[22:23]
	;; [unrolled: 1-line block ×4, first 2 shown]
	s_wait_dscnt 0xc
	v_mul_f64_e32 v[221:222], v[149:150], v[30:31]
	v_mul_f64_e32 v[30:31], v[147:148], v[30:31]
	s_wait_dscnt 0x9
	v_mul_f64_e32 v[223:224], v[161:162], v[50:51]
	v_mul_f64_e32 v[50:51], v[159:160], v[50:51]
	v_mul_f64_e32 v[225:226], v[155:156], v[62:63]
	s_wait_dscnt 0x8
	v_mul_f64_e32 v[227:228], v[165:166], v[58:59]
	v_fma_f64 v[100:101], v[100:101], v[4:5], -v[199:200]
	v_mul_f64_e32 v[199:200], v[153:154], v[54:55]
	v_mul_f64_e32 v[54:55], v[151:152], v[54:55]
	;; [unrolled: 1-line block ×3, first 2 shown]
	s_wait_dscnt 0x7
	v_mul_f64_e32 v[229:230], v[167:168], v[42:43]
	s_wait_dscnt 0x5
	v_mul_f64_e32 v[231:232], v[177:178], v[38:39]
	v_mul_f64_e32 v[38:39], v[175:176], v[38:39]
	v_fma_f64 v[102:103], v[102:103], v[4:5], v[6:7]
	v_add3_u32 v84, 0, v99, v84
	v_fma_f64 v[108:109], v[108:109], v[0:1], -v[203:204]
	v_mul_f64_e32 v[203:204], v[169:170], v[42:43]
	v_fma_f64 v[112:113], v[112:113], v[68:69], -v[205:206]
	v_fma_f64 v[68:69], v[114:115], v[68:69], v[70:71]
	v_mul_f64_e32 v[70:71], v[173:174], v[74:75]
	v_mul_f64_e32 v[74:75], v[171:172], v[74:75]
	v_fma_f64 v[104:105], v[104:105], v[8:9], -v[201:202]
	v_mul_f64_e32 v[201:202], v[157:158], v[62:63]
	s_wait_dscnt 0x4
	v_mul_f64_e32 v[114:115], v[181:182], v[78:79]
	v_mul_f64_e32 v[78:79], v[179:180], v[78:79]
	v_fma_f64 v[106:107], v[106:107], v[8:9], v[10:11]
	v_fma_f64 v[110:111], v[110:111], v[0:1], v[2:3]
	v_fma_f64 v[119:120], v[119:120], v[44:45], -v[207:208]
	v_fma_f64 v[46:47], v[121:122], v[44:45], v[46:47]
	v_fma_f64 v[121:122], v[127:128], v[12:13], -v[209:210]
	;; [unrolled: 2-line block ×10, first 2 shown]
	v_fma_f64 v[48:49], v[161:162], v[48:49], v[50:51]
	v_fma_f64 v[30:31], v[157:158], v[60:61], v[225:226]
	v_fma_f64 v[50:51], v[163:164], v[56:57], -v[227:228]
	v_fma_f64 v[54:55], v[165:166], v[56:57], v[58:59]
	v_fma_f64 v[58:59], v[175:176], v[36:37], -v[231:232]
	v_fma_f64 v[36:37], v[177:178], v[36:37], v[38:39]
	ds_load_b128 v[0:3], v116 offset:5184
	ds_load_b128 v[4:7], v116 offset:6480
	;; [unrolled: 1-line block ×4, first 2 shown]
	v_fma_f64 v[56:57], v[167:168], v[40:41], -v[203:204]
	v_fma_f64 v[40:41], v[169:170], v[40:41], v[229:230]
	v_add_f64_e32 v[135:136], v[108:109], v[112:113]
	v_fma_f64 v[38:39], v[171:172], v[72:73], -v[70:71]
	ds_load_b128 v[42:45], v116 offset:10368
	ds_load_b128 v[62:65], v116 offset:11664
	s_wait_dscnt 0x8
	v_add_f64_e32 v[141:142], v[187:188], v[108:109]
	v_fma_f64 v[28:29], v[155:156], v[60:61], -v[201:202]
	v_fma_f64 v[60:61], v[173:174], v[72:73], v[74:75]
	v_fma_f64 v[70:71], v[179:180], v[76:77], -v[114:115]
	v_fma_f64 v[72:73], v[181:182], v[76:77], v[78:79]
	v_add_f64_e32 v[74:75], v[100:101], v[104:105]
	v_add_f64_e32 v[76:77], v[102:103], v[106:107]
	;; [unrolled: 1-line block ×8, first 2 shown]
	s_wait_dscnt 0x7
	v_add_f64_e32 v[147:148], v[193:194], v[46:47]
	v_add_f64_e64 v[151:152], v[46:47], -v[127:128]
	v_add_f64_e32 v[46:47], v[123:124], v[125:126]
	v_add_f64_e32 v[153:154], v[66:67], v[129:130]
	;; [unrolled: 1-line block ×5, first 2 shown]
	s_wait_dscnt 0x6
	v_add_f64_e32 v[157:158], v[195:196], v[123:124]
	v_add_f64_e32 v[171:172], v[20:21], v[32:33]
	;; [unrolled: 1-line block ×4, first 2 shown]
	s_wait_dscnt 0x5
	v_add_f64_e32 v[165:166], v[0:1], v[16:17]
	v_add_f64_e32 v[199:200], v[24:25], v[52:53]
	;; [unrolled: 1-line block ×5, first 2 shown]
	v_add_f64_e64 v[102:103], v[102:103], -v[106:107]
	v_add_f64_e64 v[100:101], v[100:101], -v[104:105]
	;; [unrolled: 1-line block ×4, first 2 shown]
	v_add_f64_e32 v[223:224], v[56:57], v[58:59]
	v_add_f64_e32 v[225:226], v[40:41], v[36:37]
	s_wait_dscnt 0x1
	v_add_f64_e32 v[227:228], v[44:45], v[40:41]
	v_add_f64_e32 v[229:230], v[42:43], v[56:57]
	v_add_f64_e64 v[231:232], v[40:41], -v[36:37]
	v_add_f64_e64 v[233:234], v[56:57], -v[58:59]
	v_add_f64_e32 v[211:212], v[28:29], v[50:51]
	s_wait_dscnt 0x0
	v_add_f64_e32 v[235:236], v[64:65], v[60:61]
	v_add_f64_e32 v[40:41], v[38:39], v[70:71]
	;; [unrolled: 1-line block ×3, first 2 shown]
	v_add_f64_e64 v[239:240], v[60:61], -v[72:73]
	v_fma_f64 v[60:61], v[74:75], -0.5, v[183:184]
	v_fma_f64 v[74:75], v[76:77], -0.5, v[185:186]
	v_add_f64_e64 v[167:168], v[18:19], -v[133:134]
	v_add_f64_e32 v[205:206], v[8:9], v[24:25]
	v_add_f64_e32 v[215:216], v[14:15], v[30:31]
	v_add_f64_e32 v[18:19], v[78:79], v[106:107]
	v_fma_f64 v[76:77], v[135:136], -0.5, v[187:188]
	v_fma_f64 v[78:79], v[137:138], -0.5, v[189:190]
	v_add_f64_e32 v[203:204], v[10:11], v[26:27]
	v_add_f64_e32 v[217:218], v[12:13], v[28:29]
	v_add_f64_e64 v[119:120], v[119:120], -v[121:122]
	v_add_f64_e64 v[169:170], v[16:17], -v[131:132]
	v_add_f64_e32 v[175:176], v[6:7], v[22:23]
	v_add_f64_e32 v[177:178], v[4:5], v[20:21]
	v_add_f64_e64 v[179:180], v[22:23], -v[34:35]
	v_add_f64_e32 v[16:17], v[114:115], v[104:105]
	v_add_f64_e32 v[22:23], v[139:140], v[68:69]
	v_fma_f64 v[68:69], v[143:144], -0.5, v[191:192]
	v_fma_f64 v[104:105], v[145:146], -0.5, v[193:194]
	v_add_f64_e64 v[66:67], v[66:67], -v[129:130]
	v_add_f64_e64 v[123:124], v[123:124], -v[125:126]
	;; [unrolled: 1-line block ×3, first 2 shown]
	v_add_f64_e32 v[20:21], v[141:142], v[112:113]
	v_fma_f64 v[106:107], v[46:47], -0.5, v[195:196]
	v_fma_f64 v[112:113], v[153:154], -0.5, v[197:198]
	v_add_f64_e32 v[237:238], v[62:63], v[38:39]
	v_add_f64_e64 v[209:210], v[24:25], -v[52:53]
	v_add_f64_e32 v[24:25], v[149:150], v[121:122]
	v_fma_f64 v[114:115], v[159:160], -0.5, v[0:1]
	v_fma_f64 v[121:122], v[161:162], -0.5, v[2:3]
	v_add_f64_e64 v[207:208], v[26:27], -v[48:49]
	v_add_f64_e64 v[221:222], v[28:29], -v[50:51]
	v_add_f64_e32 v[26:27], v[147:148], v[127:128]
	v_add_f64_e32 v[28:29], v[157:158], v[125:126]
	v_fma_f64 v[125:126], v[171:172], -0.5, v[4:5]
	v_fma_f64 v[127:128], v[173:174], -0.5, v[6:7]
	v_add_f64_e64 v[219:220], v[30:31], -v[54:55]
	v_add_f64_e32 v[30:31], v[155:156], v[129:130]
	v_add_f64_e32 v[0:1], v[165:166], v[131:132]
	v_fma_f64 v[129:130], v[199:200], -0.5, v[8:9]
	v_fma_f64 v[131:132], v[201:202], -0.5, v[10:11]
	v_add_f64_e32 v[2:3], v[163:164], v[133:134]
	v_fma_f64 v[133:134], v[211:212], -0.5, v[12:13]
	v_fma_f64 v[135:136], v[213:214], -0.5, v[14:15]
	;; [unrolled: 1-line block ×4, first 2 shown]
	v_add_f64_e64 v[241:242], v[38:39], -v[70:71]
	v_fma_f64 v[141:142], v[40:41], -0.5, v[62:63]
	v_fma_f64 v[143:144], v[56:57], -0.5, v[64:65]
	v_fma_f64 v[44:45], v[102:103], s[6:7], v[60:61]
	v_fma_f64 v[46:47], v[100:101], s[2:3], v[74:75]
	v_add_f64_e32 v[8:9], v[205:206], v[52:53]
	v_add_f64_e32 v[14:15], v[215:216], v[54:55]
	v_fma_f64 v[52:53], v[110:111], s[6:7], v[76:77]
	v_fma_f64 v[54:55], v[108:109], s[2:3], v[78:79]
	v_fma_f64 v[40:41], v[102:103], s[2:3], v[60:61]
	v_fma_f64 v[42:43], v[100:101], s[6:7], v[74:75]
	v_add_f64_e32 v[10:11], v[203:204], v[48:49]
	v_add_f64_e32 v[12:13], v[217:218], v[50:51]
	v_fma_f64 v[48:49], v[110:111], s[2:3], v[76:77]
	v_fma_f64 v[50:51], v[108:109], s[6:7], v[78:79]
	v_add_f64_e32 v[4:5], v[177:178], v[32:33]
	v_add_f64_e32 v[32:33], v[229:230], v[58:59]
	v_fma_f64 v[56:57], v[151:152], s[2:3], v[68:69]
	v_fma_f64 v[58:59], v[119:120], s[6:7], v[104:105]
	;; [unrolled: 1-line block ×7, first 2 shown]
	v_add_f64_e32 v[6:7], v[175:176], v[34:35]
	v_add_f64_e32 v[34:35], v[227:228], v[36:37]
	;; [unrolled: 1-line block ×3, first 2 shown]
	v_fma_f64 v[70:71], v[123:124], s[2:3], v[112:113]
	v_add_f64_e32 v[38:39], v[235:236], v[72:73]
	v_fma_f64 v[72:73], v[167:168], s[2:3], v[114:115]
	v_fma_f64 v[74:75], v[169:170], s[6:7], v[121:122]
	;; [unrolled: 1-line block ×24, first 2 shown]
	global_wb scope:SCOPE_SE
	s_barrier_signal -1
	s_barrier_wait -1
	global_inv scope:SCOPE_SE
	ds_store_b128 v116, v[16:19]
	ds_store_b128 v116, v[20:23] offset:1296
	ds_store_b128 v116, v[44:47] offset:8640
	ds_store_b128 v116, v[52:55] offset:9936
	ds_store_b128 v116, v[24:27] offset:2592
	ds_store_b128 v116, v[40:43] offset:4320
	ds_store_b128 v116, v[48:51] offset:5616
	ds_store_b128 v116, v[56:59] offset:6912
	ds_store_b128 v116, v[60:63] offset:11232
	ds_store_b128 v98, v[28:31]
	ds_store_b128 v98, v[64:67] offset:4320
	ds_store_b128 v98, v[68:71] offset:8640
	ds_store_b128 v116, v[0:3] offset:13824
	ds_store_b128 v116, v[4:7] offset:15120
	ds_store_b128 v116, v[72:75] offset:18144
	ds_store_b128 v116, v[100:103] offset:19440
	ds_store_b128 v116, v[76:79] offset:22464
	ds_store_b128 v116, v[104:107] offset:23760
	;; [unrolled: 9-line block ×3, first 2 shown]
	ds_store_b128 v96, v[135:138] offset:30240
	ds_store_b128 v96, v[36:39] offset:25920
	ds_store_b128 v96, v[139:142] offset:34560
	global_wb scope:SCOPE_SE
	s_wait_dscnt 0x0
	s_barrier_signal -1
	s_barrier_wait -1
	global_inv scope:SCOPE_SE
	s_clause 0x1
	global_load_b128 v[0:3], v[86:87], off offset:12800
	global_load_b128 v[4:7], v[86:87], off offset:12816
	v_lshlrev_b32_e32 v84, 1, v245
	v_add_co_u32 v44, s0, s4, v80
	s_wait_alu 0xf1ff
	v_add_co_ci_u32_e64 v45, s0, s5, v81, s0
	s_delay_alu instid0(VALU_DEP_3)
	v_lshlrev_b64_e32 v[36:37], 4, v[84:85]
	v_lshlrev_b32_e32 v84, 1, v244
	s_clause 0x1
	global_load_b128 v[8:11], v[88:89], off offset:12800
	global_load_b128 v[12:15], v[88:89], off offset:12816
	v_add_co_u32 v52, s0, s4, v117
	v_lshlrev_b64_e32 v[54:55], 4, v[84:85]
	v_lshlrev_b32_e32 v84, 1, v255
	s_wait_alu 0xf1ff
	v_add_co_ci_u32_e64 v53, s0, s5, v118, s0
	global_load_b128 v[16:19], v[90:91], off offset:12800
	v_add_co_u32 v60, s0, s4, v36
	v_lshlrev_b64_e32 v[70:71], 4, v[84:85]
	s_clause 0x3
	global_load_b128 v[20:23], v[90:91], off offset:12816
	global_load_b128 v[24:27], v[92:93], off offset:12800
	;; [unrolled: 1-line block ×4, first 2 shown]
	s_wait_alu 0xf1ff
	v_add_co_ci_u32_e64 v61, s0, s5, v37, s0
	v_add_co_u32 v68, s0, s4, v54
	s_clause 0x3
	global_load_b128 v[36:39], v[82:83], off offset:12816
	global_load_b128 v[40:43], v[44:45], off offset:12800
	global_load_b128 v[44:47], v[44:45], off offset:12816
	global_load_b128 v[48:51], v[52:53], off offset:12800
	s_wait_alu 0xf1ff
	v_add_co_ci_u32_e64 v69, s0, s5, v55, s0
	v_add_co_u32 v76, s0, s4, v70
	global_load_b128 v[52:55], v[52:53], off offset:12816
	s_wait_alu 0xf1ff
	v_add_co_ci_u32_e64 v77, s0, s5, v71, s0
	s_clause 0x5
	global_load_b128 v[56:59], v[60:61], off offset:12800
	global_load_b128 v[60:63], v[60:61], off offset:12816
	global_load_b128 v[64:67], v[68:69], off offset:12800
	global_load_b128 v[68:71], v[68:69], off offset:12816
	global_load_b128 v[72:75], v[76:77], off offset:12800
	global_load_b128 v[76:79], v[76:77], off offset:12816
	ds_load_b128 v[86:89], v116 offset:12960
	ds_load_b128 v[90:93], v116 offset:14256
	;; [unrolled: 1-line block ×20, first 2 shown]
	ds_load_b128 v[169:172], v116
	ds_load_b128 v[173:176], v116 offset:1296
	ds_load_b128 v[177:180], v116 offset:2592
	;; [unrolled: 1-line block ×5, first 2 shown]
	s_wait_loadcnt_dscnt 0x1319
	v_mul_f64_e32 v[80:81], v[88:89], v[2:3]
	v_mul_f64_e32 v[2:3], v[86:87], v[2:3]
	s_wait_loadcnt_dscnt 0x1217
	v_mul_f64_e32 v[82:83], v[96:97], v[6:7]
	v_mul_f64_e32 v[6:7], v[94:95], v[6:7]
	s_wait_loadcnt 0x11
	v_mul_f64_e32 v[114:115], v[92:93], v[10:11]
	v_mul_f64_e32 v[10:11], v[90:91], v[10:11]
	s_wait_loadcnt_dscnt 0x1016
	v_mul_f64_e32 v[193:194], v[100:101], v[14:15]
	v_mul_f64_e32 v[14:15], v[98:99], v[14:15]
	s_wait_loadcnt_dscnt 0xf15
	v_mul_f64_e32 v[195:196], v[104:105], v[18:19]
	v_mul_f64_e32 v[18:19], v[102:103], v[18:19]
	s_wait_loadcnt_dscnt 0xe13
	v_mul_f64_e32 v[197:198], v[112:113], v[22:23]
	v_mul_f64_e32 v[22:23], v[110:111], v[22:23]
	s_wait_loadcnt 0xd
	v_mul_f64_e32 v[199:200], v[108:109], v[26:27]
	v_mul_f64_e32 v[26:27], v[106:107], v[26:27]
	s_wait_loadcnt_dscnt 0xc12
	v_mul_f64_e32 v[201:202], v[119:120], v[30:31]
	v_mul_f64_e32 v[30:31], v[117:118], v[30:31]
	;; [unrolled: 12-line block ×4, first 2 shown]
	v_fma_f64 v[80:81], v[86:87], v[0:1], -v[80:81]
	v_fma_f64 v[86:87], v[88:89], v[0:1], v[2:3]
	s_wait_loadcnt_dscnt 0x309
	v_mul_f64_e32 v[88:89], v[155:156], v[66:67]
	v_mul_f64_e32 v[66:67], v[153:154], v[66:67]
	s_wait_loadcnt_dscnt 0x207
	v_mul_f64_e32 v[219:220], v[163:164], v[70:71]
	v_mul_f64_e32 v[70:71], v[161:162], v[70:71]
	v_fma_f64 v[82:83], v[94:95], v[4:5], -v[82:83]
	v_fma_f64 v[94:95], v[96:97], v[4:5], v[6:7]
	s_wait_loadcnt 0x1
	v_mul_f64_e32 v[96:97], v[159:160], v[74:75]
	v_mul_f64_e32 v[74:75], v[157:158], v[74:75]
	s_wait_loadcnt_dscnt 0x6
	v_mul_f64_e32 v[221:222], v[167:168], v[78:79]
	v_mul_f64_e32 v[78:79], v[165:166], v[78:79]
	v_fma_f64 v[90:91], v[90:91], v[8:9], -v[114:115]
	v_fma_f64 v[92:93], v[92:93], v[8:9], v[10:11]
	v_fma_f64 v[98:99], v[98:99], v[12:13], -v[193:194]
	v_fma_f64 v[100:101], v[100:101], v[12:13], v[14:15]
	;; [unrolled: 2-line block ×16, first 2 shown]
	ds_load_b128 v[0:3], v116 offset:7776
	ds_load_b128 v[4:7], v116 offset:9072
	;; [unrolled: 1-line block ×4, first 2 shown]
	v_fma_f64 v[64:65], v[157:158], v[72:73], -v[96:97]
	v_fma_f64 v[66:67], v[159:160], v[72:73], v[74:75]
	v_fma_f64 v[68:69], v[165:166], v[76:77], -v[221:222]
	v_fma_f64 v[70:71], v[167:168], v[76:77], v[78:79]
	v_add_f64_e32 v[72:73], v[80:81], v[82:83]
	v_add_f64_e32 v[74:75], v[86:87], v[94:95]
	v_add_f64_e32 v[88:89], v[90:91], v[98:99]
	v_add_f64_e32 v[96:97], v[92:93], v[100:101]
	s_wait_dscnt 0x9
	v_add_f64_e32 v[76:77], v[171:172], v[86:87]
	v_add_f64_e32 v[78:79], v[169:170], v[80:81]
	v_add_f64_e32 v[114:115], v[102:103], v[104:105]
	v_add_f64_e32 v[117:118], v[16:17], v[110:111]
	s_wait_dscnt 0x8
	;; [unrolled: 5-line block ×3, first 2 shown]
	v_add_f64_e32 v[121:122], v[177:178], v[102:103]
	s_wait_dscnt 0x6
	v_add_f64_e32 v[129:130], v[183:184], v[20:21]
	v_add_f64_e32 v[137:138], v[22:23], v[32:33]
	;; [unrolled: 1-line block ×7, first 2 shown]
	s_wait_dscnt 0x3
	v_add_f64_e32 v[167:168], v[0:1], v[40:41]
	v_add_f64_e32 v[165:166], v[2:3], v[42:43]
	;; [unrolled: 1-line block ×4, first 2 shown]
	v_add_f64_e64 v[193:194], v[42:43], -v[46:47]
	v_add_f64_e64 v[195:196], v[40:41], -v[44:45]
	v_add_f64_e32 v[40:41], v[48:49], v[52:53]
	v_add_f64_e32 v[42:43], v[50:51], v[54:55]
	s_wait_dscnt 0x2
	v_add_f64_e32 v[197:198], v[6:7], v[50:51]
	v_add_f64_e32 v[199:200], v[4:5], v[48:49]
	v_add_f64_e64 v[201:202], v[50:51], -v[54:55]
	v_add_f64_e64 v[203:204], v[48:49], -v[52:53]
	v_add_f64_e32 v[48:49], v[56:57], v[60:61]
	v_add_f64_e32 v[50:51], v[58:59], v[62:63]
	s_wait_dscnt 0x1
	v_add_f64_e32 v[205:206], v[10:11], v[58:59]
	v_add_f64_e32 v[207:208], v[8:9], v[56:57]
	v_add_f64_e64 v[209:210], v[58:59], -v[62:63]
	v_add_f64_e64 v[211:212], v[56:57], -v[60:61]
	v_add_f64_e32 v[56:57], v[64:65], v[68:69]
	v_add_f64_e32 v[58:59], v[66:67], v[70:71]
	;; [unrolled: 1-line block ×6, first 2 shown]
	s_wait_dscnt 0x0
	v_add_f64_e32 v[213:214], v[14:15], v[66:67]
	v_add_f64_e32 v[215:216], v[12:13], v[64:65]
	v_add_f64_e64 v[86:87], v[86:87], -v[94:95]
	v_add_f64_e64 v[80:81], v[80:81], -v[82:83]
	;; [unrolled: 1-line block ×4, first 2 shown]
	v_fma_f64 v[64:65], v[72:73], -0.5, v[169:170]
	v_fma_f64 v[66:67], v[74:75], -0.5, v[171:172]
	v_add_f64_e64 v[92:93], v[92:93], -v[100:101]
	v_add_f64_e64 v[90:91], v[90:91], -v[98:99]
	v_fma_f64 v[72:73], v[88:89], -0.5, v[173:174]
	v_fma_f64 v[74:75], v[96:97], -0.5, v[175:176]
	v_add_f64_e64 v[123:124], v[16:17], -v[110:111]
	v_add_f64_e64 v[102:103], v[102:103], -v[104:105]
	;; [unrolled: 1-line block ×3, first 2 shown]
	v_add_f64_e32 v[18:19], v[76:77], v[94:95]
	v_add_f64_e32 v[16:17], v[78:79], v[82:83]
	v_fma_f64 v[76:77], v[114:115], -0.5, v[177:178]
	v_fma_f64 v[78:79], v[117:118], -0.5, v[179:180]
	v_add_f64_e64 v[133:134], v[20:21], -v[28:29]
	v_fma_f64 v[82:83], v[125:126], -0.5, v[181:182]
	v_fma_f64 v[88:89], v[127:128], -0.5, v[183:184]
	v_add_f64_e64 v[145:146], v[24:25], -v[34:35]
	v_add_f64_e64 v[147:148], v[22:23], -v[32:33]
	v_fma_f64 v[94:95], v[137:138], -0.5, v[185:186]
	v_fma_f64 v[96:97], v[139:140], -0.5, v[187:188]
	v_add_f64_e64 v[157:158], v[30:31], -v[38:39]
	v_add_f64_e64 v[159:160], v[26:27], -v[36:37]
	v_add_f64_e32 v[22:23], v[108:109], v[100:101]
	v_add_f64_e32 v[20:21], v[112:113], v[98:99]
	v_fma_f64 v[98:99], v[149:150], -0.5, v[189:190]
	v_fma_f64 v[100:101], v[151:152], -0.5, v[191:192]
	v_add_f64_e32 v[24:25], v[121:122], v[104:105]
	v_add_f64_e32 v[30:31], v[129:130], v[28:29]
	;; [unrolled: 1-line block ×3, first 2 shown]
	v_fma_f64 v[104:105], v[161:162], -0.5, v[0:1]
	v_fma_f64 v[106:107], v[163:164], -0.5, v[2:3]
	v_add_f64_e32 v[26:27], v[119:120], v[110:111]
	v_fma_f64 v[108:109], v[40:41], -0.5, v[4:5]
	v_fma_f64 v[110:111], v[42:43], -0.5, v[6:7]
	;; [unrolled: 1-line block ×6, first 2 shown]
	v_add_f64_e32 v[34:35], v[141:142], v[34:35]
	v_add_f64_e32 v[32:33], v[143:144], v[32:33]
	;; [unrolled: 1-line block ×12, first 2 shown]
	v_fma_f64 v[40:41], v[86:87], s[2:3], v[64:65]
	v_fma_f64 v[42:43], v[80:81], s[6:7], v[66:67]
	;; [unrolled: 1-line block ×40, first 2 shown]
	global_wb scope:SCOPE_SE
	s_barrier_signal -1
	s_barrier_wait -1
	global_inv scope:SCOPE_SE
	ds_store_b128 v116, v[16:19]
	ds_store_b128 v116, v[20:23] offset:1296
	ds_store_b128 v116, v[24:27] offset:2592
	;; [unrolled: 1-line block ×29, first 2 shown]
	global_wb scope:SCOPE_SE
	s_wait_dscnt 0x0
	s_barrier_signal -1
	s_barrier_wait -1
	global_inv scope:SCOPE_SE
	s_and_saveexec_b32 s0, vcc_lo
	s_cbranch_execz .LBB0_19
; %bb.18:
	scratch_load_b64 v[2:3], off, off offset:40 th:TH_LOAD_LU ; 8-byte Folded Reload
	v_mov_b32_e32 v244, v85
	v_lshl_add_u32 v34, v243, 4, 0
	v_add_nc_u32_e32 v84, 0x51, v243
	s_delay_alu instid0(VALU_DEP_3) | instskip(NEXT) | instid1(VALU_DEP_2)
	v_lshlrev_b64_e32 v[0:1], 4, v[243:244]
	v_lshlrev_b64_e32 v[16:17], 4, v[84:85]
	v_add_nc_u32_e32 v84, 0xa2, v243
	s_delay_alu instid0(VALU_DEP_1) | instskip(SKIP_1) | instid1(VALU_DEP_1)
	v_lshlrev_b64_e32 v[20:21], 4, v[84:85]
	v_add_nc_u32_e32 v84, 0xf3, v243
	v_lshlrev_b64_e32 v[22:23], 4, v[84:85]
	v_add_nc_u32_e32 v84, 0x144, v243
	s_delay_alu instid0(VALU_DEP_1)
	v_lshlrev_b64_e32 v[24:25], 4, v[84:85]
	v_add_nc_u32_e32 v84, 0x195, v243
	s_wait_loadcnt 0x0
	v_add_co_u32 v36, vcc_lo, s8, v2
	s_wait_alu 0xfffd
	v_add_co_ci_u32_e32 v37, vcc_lo, s9, v3, vcc_lo
	s_delay_alu instid0(VALU_DEP_2) | instskip(SKIP_1) | instid1(VALU_DEP_2)
	v_add_co_u32 v18, vcc_lo, v36, v0
	s_wait_alu 0xfffd
	v_add_co_ci_u32_e32 v19, vcc_lo, v37, v1, vcc_lo
	ds_load_b128 v[0:3], v34
	ds_load_b128 v[4:7], v34 offset:1296
	ds_load_b128 v[8:11], v34 offset:2592
	;; [unrolled: 1-line block ×3, first 2 shown]
	v_add_co_u32 v16, vcc_lo, v36, v16
	s_wait_alu 0xfffd
	v_add_co_ci_u32_e32 v17, vcc_lo, v37, v17, vcc_lo
	v_add_co_u32 v20, vcc_lo, v36, v20
	s_wait_alu 0xfffd
	v_add_co_ci_u32_e32 v21, vcc_lo, v37, v21, vcc_lo
	;; [unrolled: 3-line block ×3, first 2 shown]
	s_wait_dscnt 0x3
	global_store_b128 v[18:19], v[0:3], off
	s_wait_dscnt 0x2
	global_store_b128 v[16:17], v[4:7], off
	;; [unrolled: 2-line block ×4, first 2 shown]
	v_lshlrev_b64_e32 v[16:17], 4, v[84:85]
	v_add_nc_u32_e32 v84, 0x1e6, v243
	ds_load_b128 v[0:3], v34 offset:5184
	ds_load_b128 v[4:7], v34 offset:6480
	;; [unrolled: 1-line block ×4, first 2 shown]
	v_add_co_u32 v18, vcc_lo, v36, v24
	v_lshlrev_b64_e32 v[20:21], 4, v[84:85]
	v_add_nc_u32_e32 v84, 0x237, v243
	s_wait_alu 0xfffd
	v_add_co_ci_u32_e32 v19, vcc_lo, v37, v25, vcc_lo
	v_add_co_u32 v16, vcc_lo, v36, v16
	s_delay_alu instid0(VALU_DEP_3)
	v_lshlrev_b64_e32 v[22:23], 4, v[84:85]
	v_add_nc_u32_e32 v84, 0x288, v243
	s_wait_alu 0xfffd
	v_add_co_ci_u32_e32 v17, vcc_lo, v37, v17, vcc_lo
	v_add_co_u32 v20, vcc_lo, v36, v20
	s_wait_alu 0xfffd
	v_add_co_ci_u32_e32 v21, vcc_lo, v37, v21, vcc_lo
	v_add_co_u32 v22, vcc_lo, v36, v22
	v_lshlrev_b64_e32 v[24:25], 4, v[84:85]
	v_add_nc_u32_e32 v84, 0x2d9, v243
	s_wait_alu 0xfffd
	v_add_co_ci_u32_e32 v23, vcc_lo, v37, v23, vcc_lo
	s_wait_dscnt 0x3
	global_store_b128 v[18:19], v[0:3], off
	s_wait_dscnt 0x2
	global_store_b128 v[16:17], v[4:7], off
	s_wait_dscnt 0x1
	global_store_b128 v[20:21], v[8:11], off
	s_wait_dscnt 0x0
	global_store_b128 v[22:23], v[12:15], off
	ds_load_b128 v[0:3], v34 offset:10368
	ds_load_b128 v[4:7], v34 offset:11664
	v_lshlrev_b64_e32 v[16:17], 4, v[84:85]
	v_add_nc_u32_e32 v84, 0x32a, v243
	ds_load_b128 v[8:11], v34 offset:12960
	ds_load_b128 v[12:15], v34 offset:14256
	v_add_co_u32 v18, vcc_lo, v36, v24
	s_wait_alu 0xfffd
	v_add_co_ci_u32_e32 v19, vcc_lo, v37, v25, vcc_lo
	v_lshlrev_b64_e32 v[20:21], 4, v[84:85]
	v_add_nc_u32_e32 v84, 0x37b, v243
	v_add_co_u32 v16, vcc_lo, v36, v16
	s_wait_alu 0xfffd
	v_add_co_ci_u32_e32 v17, vcc_lo, v37, v17, vcc_lo
	s_delay_alu instid0(VALU_DEP_3) | instskip(SKIP_4) | instid1(VALU_DEP_4)
	v_lshlrev_b64_e32 v[22:23], 4, v[84:85]
	v_add_nc_u32_e32 v84, 0x3cc, v243
	v_add_co_u32 v20, vcc_lo, v36, v20
	s_wait_alu 0xfffd
	v_add_co_ci_u32_e32 v21, vcc_lo, v37, v21, vcc_lo
	v_add_co_u32 v22, vcc_lo, v36, v22
	v_lshlrev_b64_e32 v[24:25], 4, v[84:85]
	v_add_nc_u32_e32 v84, 0x41d, v243
	s_wait_alu 0xfffd
	v_add_co_ci_u32_e32 v23, vcc_lo, v37, v23, vcc_lo
	s_wait_dscnt 0x3
	global_store_b128 v[18:19], v[0:3], off
	s_wait_dscnt 0x2
	global_store_b128 v[16:17], v[4:7], off
	s_wait_dscnt 0x1
	global_store_b128 v[20:21], v[8:11], off
	s_wait_dscnt 0x0
	global_store_b128 v[22:23], v[12:15], off
	ds_load_b128 v[0:3], v34 offset:15552
	ds_load_b128 v[4:7], v34 offset:16848
	v_lshlrev_b64_e32 v[16:17], 4, v[84:85]
	v_add_nc_u32_e32 v84, 0x46e, v243
	ds_load_b128 v[8:11], v34 offset:18144
	ds_load_b128 v[12:15], v34 offset:19440
	v_add_co_u32 v18, vcc_lo, v36, v24
	s_wait_alu 0xfffd
	v_add_co_ci_u32_e32 v19, vcc_lo, v37, v25, vcc_lo
	v_lshlrev_b64_e32 v[20:21], 4, v[84:85]
	v_add_nc_u32_e32 v84, 0x4bf, v243
	v_add_co_u32 v16, vcc_lo, v36, v16
	s_wait_alu 0xfffd
	v_add_co_ci_u32_e32 v17, vcc_lo, v37, v17, vcc_lo
	s_delay_alu instid0(VALU_DEP_3) | instskip(SKIP_4) | instid1(VALU_DEP_4)
	v_lshlrev_b64_e32 v[22:23], 4, v[84:85]
	v_add_nc_u32_e32 v84, 0x510, v243
	;; [unrolled: 33-line block ×3, first 2 shown]
	v_add_co_u32 v20, vcc_lo, v36, v20
	s_wait_alu 0xfffd
	v_add_co_ci_u32_e32 v21, vcc_lo, v37, v21, vcc_lo
	v_add_co_u32 v22, vcc_lo, v36, v22
	v_lshlrev_b64_e32 v[24:25], 4, v[84:85]
	v_add_nc_u32_e32 v84, 0x6a5, v243
	s_wait_alu 0xfffd
	v_add_co_ci_u32_e32 v23, vcc_lo, v37, v23, vcc_lo
	s_wait_dscnt 0x3
	global_store_b128 v[18:19], v[0:3], off
	s_wait_dscnt 0x2
	global_store_b128 v[16:17], v[4:7], off
	;; [unrolled: 2-line block ×4, first 2 shown]
	ds_load_b128 v[0:3], v34 offset:25920
	ds_load_b128 v[4:7], v34 offset:27216
	v_lshlrev_b64_e32 v[16:17], 4, v[84:85]
	v_add_nc_u32_e32 v84, 0x6f6, v243
	ds_load_b128 v[8:11], v34 offset:28512
	ds_load_b128 v[12:15], v34 offset:29808
	v_add_co_u32 v18, vcc_lo, v36, v24
	s_wait_alu 0xfffd
	v_add_co_ci_u32_e32 v19, vcc_lo, v37, v25, vcc_lo
	v_lshlrev_b64_e32 v[20:21], 4, v[84:85]
	v_add_nc_u32_e32 v84, 0x747, v243
	v_add_co_u32 v16, vcc_lo, v36, v16
	s_wait_alu 0xfffd
	v_add_co_ci_u32_e32 v17, vcc_lo, v37, v17, vcc_lo
	s_delay_alu instid0(VALU_DEP_3) | instskip(SKIP_4) | instid1(VALU_DEP_3)
	v_lshlrev_b64_e32 v[22:23], 4, v[84:85]
	v_add_nc_u32_e32 v84, 0x798, v243
	v_add_co_u32 v20, vcc_lo, v36, v20
	s_wait_alu 0xfffd
	v_add_co_ci_u32_e32 v21, vcc_lo, v37, v21, vcc_lo
	v_lshlrev_b64_e32 v[24:25], 4, v[84:85]
	v_add_nc_u32_e32 v84, 0x7e9, v243
	v_add_co_u32 v22, vcc_lo, v36, v22
	s_wait_alu 0xfffd
	v_add_co_ci_u32_e32 v23, vcc_lo, v37, v23, vcc_lo
	s_wait_dscnt 0x3
	global_store_b128 v[18:19], v[0:3], off
	s_wait_dscnt 0x2
	global_store_b128 v[16:17], v[4:7], off
	;; [unrolled: 2-line block ×4, first 2 shown]
	v_lshlrev_b64_e32 v[8:9], 4, v[84:85]
	v_add_nc_u32_e32 v84, 0x83a, v243
	v_add_co_u32 v24, vcc_lo, v36, v24
	s_wait_alu 0xfffd
	v_add_co_ci_u32_e32 v25, vcc_lo, v37, v25, vcc_lo
	s_delay_alu instid0(VALU_DEP_3) | instskip(SKIP_4) | instid1(VALU_DEP_4)
	v_lshlrev_b64_e32 v[10:11], 4, v[84:85]
	v_add_co_u32 v26, vcc_lo, v36, v8
	v_add_nc_u32_e32 v84, 0x88b, v243
	s_wait_alu 0xfffd
	v_add_co_ci_u32_e32 v27, vcc_lo, v37, v9, vcc_lo
	v_add_co_u32 v30, vcc_lo, v36, v10
	ds_load_b128 v[0:3], v34 offset:31104
	ds_load_b128 v[4:7], v34 offset:32400
	s_wait_alu 0xfffd
	v_add_co_ci_u32_e32 v31, vcc_lo, v37, v11, vcc_lo
	ds_load_b128 v[8:11], v34 offset:33696
	ds_load_b128 v[12:15], v34 offset:34992
	;; [unrolled: 1-line block ×4, first 2 shown]
	v_lshlrev_b64_e32 v[28:29], 4, v[84:85]
	v_add_nc_u32_e32 v84, 0x8dc, v243
	s_delay_alu instid0(VALU_DEP_1) | instskip(SKIP_1) | instid1(VALU_DEP_4)
	v_lshlrev_b64_e32 v[32:33], 4, v[84:85]
	v_add_nc_u32_e32 v84, 0x92d, v243
	v_add_co_u32 v28, vcc_lo, v36, v28
	s_wait_alu 0xfffd
	v_add_co_ci_u32_e32 v29, vcc_lo, v37, v29, vcc_lo
	s_delay_alu instid0(VALU_DEP_3) | instskip(SKIP_3) | instid1(VALU_DEP_3)
	v_lshlrev_b64_e32 v[34:35], 4, v[84:85]
	v_add_co_u32 v32, vcc_lo, v36, v32
	s_wait_alu 0xfffd
	v_add_co_ci_u32_e32 v33, vcc_lo, v37, v33, vcc_lo
	v_add_co_u32 v34, vcc_lo, v36, v34
	s_wait_alu 0xfffd
	v_add_co_ci_u32_e32 v35, vcc_lo, v37, v35, vcc_lo
	s_wait_dscnt 0x5
	global_store_b128 v[24:25], v[0:3], off
	s_wait_dscnt 0x4
	global_store_b128 v[26:27], v[4:7], off
	;; [unrolled: 2-line block ×6, first 2 shown]
.LBB0_19:
	s_nop 0
	s_sendmsg sendmsg(MSG_DEALLOC_VGPRS)
	s_endpgm
	.section	.rodata,"a",@progbits
	.p2align	6, 0x0
	.amdhsa_kernel fft_rtc_fwd_len2430_factors_10_3_3_3_3_3_wgs_81_tpt_81_halfLds_dp_ip_CI_unitstride_sbrr_C2R_dirReg
		.amdhsa_group_segment_fixed_size 0
		.amdhsa_private_segment_fixed_size 160
		.amdhsa_kernarg_size 88
		.amdhsa_user_sgpr_count 2
		.amdhsa_user_sgpr_dispatch_ptr 0
		.amdhsa_user_sgpr_queue_ptr 0
		.amdhsa_user_sgpr_kernarg_segment_ptr 1
		.amdhsa_user_sgpr_dispatch_id 0
		.amdhsa_user_sgpr_private_segment_size 0
		.amdhsa_wavefront_size32 1
		.amdhsa_uses_dynamic_stack 0
		.amdhsa_enable_private_segment 1
		.amdhsa_system_sgpr_workgroup_id_x 1
		.amdhsa_system_sgpr_workgroup_id_y 0
		.amdhsa_system_sgpr_workgroup_id_z 0
		.amdhsa_system_sgpr_workgroup_info 0
		.amdhsa_system_vgpr_workitem_id 0
		.amdhsa_next_free_vgpr 256
		.amdhsa_next_free_sgpr 32
		.amdhsa_reserve_vcc 1
		.amdhsa_float_round_mode_32 0
		.amdhsa_float_round_mode_16_64 0
		.amdhsa_float_denorm_mode_32 3
		.amdhsa_float_denorm_mode_16_64 3
		.amdhsa_fp16_overflow 0
		.amdhsa_workgroup_processor_mode 1
		.amdhsa_memory_ordered 1
		.amdhsa_forward_progress 0
		.amdhsa_round_robin_scheduling 0
		.amdhsa_exception_fp_ieee_invalid_op 0
		.amdhsa_exception_fp_denorm_src 0
		.amdhsa_exception_fp_ieee_div_zero 0
		.amdhsa_exception_fp_ieee_overflow 0
		.amdhsa_exception_fp_ieee_underflow 0
		.amdhsa_exception_fp_ieee_inexact 0
		.amdhsa_exception_int_div_zero 0
	.end_amdhsa_kernel
	.text
.Lfunc_end0:
	.size	fft_rtc_fwd_len2430_factors_10_3_3_3_3_3_wgs_81_tpt_81_halfLds_dp_ip_CI_unitstride_sbrr_C2R_dirReg, .Lfunc_end0-fft_rtc_fwd_len2430_factors_10_3_3_3_3_3_wgs_81_tpt_81_halfLds_dp_ip_CI_unitstride_sbrr_C2R_dirReg
                                        ; -- End function
	.section	.AMDGPU.csdata,"",@progbits
; Kernel info:
; codeLenInByte = 25440
; NumSgprs: 34
; NumVgprs: 256
; ScratchSize: 160
; MemoryBound: 0
; FloatMode: 240
; IeeeMode: 1
; LDSByteSize: 0 bytes/workgroup (compile time only)
; SGPRBlocks: 4
; VGPRBlocks: 31
; NumSGPRsForWavesPerEU: 34
; NumVGPRsForWavesPerEU: 256
; Occupancy: 5
; WaveLimiterHint : 1
; COMPUTE_PGM_RSRC2:SCRATCH_EN: 1
; COMPUTE_PGM_RSRC2:USER_SGPR: 2
; COMPUTE_PGM_RSRC2:TRAP_HANDLER: 0
; COMPUTE_PGM_RSRC2:TGID_X_EN: 1
; COMPUTE_PGM_RSRC2:TGID_Y_EN: 0
; COMPUTE_PGM_RSRC2:TGID_Z_EN: 0
; COMPUTE_PGM_RSRC2:TIDIG_COMP_CNT: 0
	.text
	.p2alignl 7, 3214868480
	.fill 96, 4, 3214868480
	.type	__hip_cuid_d243034abd1722ac,@object ; @__hip_cuid_d243034abd1722ac
	.section	.bss,"aw",@nobits
	.globl	__hip_cuid_d243034abd1722ac
__hip_cuid_d243034abd1722ac:
	.byte	0                               ; 0x0
	.size	__hip_cuid_d243034abd1722ac, 1

	.ident	"AMD clang version 19.0.0git (https://github.com/RadeonOpenCompute/llvm-project roc-6.4.0 25133 c7fe45cf4b819c5991fe208aaa96edf142730f1d)"
	.section	".note.GNU-stack","",@progbits
	.addrsig
	.addrsig_sym __hip_cuid_d243034abd1722ac
	.amdgpu_metadata
---
amdhsa.kernels:
  - .args:
      - .actual_access:  read_only
        .address_space:  global
        .offset:         0
        .size:           8
        .value_kind:     global_buffer
      - .offset:         8
        .size:           8
        .value_kind:     by_value
      - .actual_access:  read_only
        .address_space:  global
        .offset:         16
        .size:           8
        .value_kind:     global_buffer
      - .actual_access:  read_only
        .address_space:  global
        .offset:         24
        .size:           8
        .value_kind:     global_buffer
      - .offset:         32
        .size:           8
        .value_kind:     by_value
      - .actual_access:  read_only
        .address_space:  global
        .offset:         40
        .size:           8
        .value_kind:     global_buffer
      - .actual_access:  read_only
        .address_space:  global
        .offset:         48
        .size:           8
        .value_kind:     global_buffer
      - .offset:         56
        .size:           4
        .value_kind:     by_value
      - .actual_access:  read_only
        .address_space:  global
        .offset:         64
        .size:           8
        .value_kind:     global_buffer
      - .actual_access:  read_only
        .address_space:  global
        .offset:         72
        .size:           8
        .value_kind:     global_buffer
      - .address_space:  global
        .offset:         80
        .size:           8
        .value_kind:     global_buffer
    .group_segment_fixed_size: 0
    .kernarg_segment_align: 8
    .kernarg_segment_size: 88
    .language:       OpenCL C
    .language_version:
      - 2
      - 0
    .max_flat_workgroup_size: 81
    .name:           fft_rtc_fwd_len2430_factors_10_3_3_3_3_3_wgs_81_tpt_81_halfLds_dp_ip_CI_unitstride_sbrr_C2R_dirReg
    .private_segment_fixed_size: 160
    .sgpr_count:     34
    .sgpr_spill_count: 0
    .symbol:         fft_rtc_fwd_len2430_factors_10_3_3_3_3_3_wgs_81_tpt_81_halfLds_dp_ip_CI_unitstride_sbrr_C2R_dirReg.kd
    .uniform_work_group_size: 1
    .uses_dynamic_stack: false
    .vgpr_count:     256
    .vgpr_spill_count: 42
    .wavefront_size: 32
    .workgroup_processor_mode: 1
amdhsa.target:   amdgcn-amd-amdhsa--gfx1201
amdhsa.version:
  - 1
  - 2
...

	.end_amdgpu_metadata
